;; amdgpu-corpus repo=ROCm/rocSOLVER kind=compiled arch=gfx90a opt=O3
	.text
	.amdgcn_target "amdgcn-amd-amdhsa--gfx90a"
	.amdhsa_code_object_version 6
	.section	.text._ZN9rocsolver6v33100L6iota_nIfEEvPT_jS2_,"axG",@progbits,_ZN9rocsolver6v33100L6iota_nIfEEvPT_jS2_,comdat
	.globl	_ZN9rocsolver6v33100L6iota_nIfEEvPT_jS2_ ; -- Begin function _ZN9rocsolver6v33100L6iota_nIfEEvPT_jS2_
	.p2align	8
	.type	_ZN9rocsolver6v33100L6iota_nIfEEvPT_jS2_,@function
_ZN9rocsolver6v33100L6iota_nIfEEvPT_jS2_: ; @_ZN9rocsolver6v33100L6iota_nIfEEvPT_jS2_
; %bb.0:
	s_load_dwordx2 s[0:1], s[4:5], 0x8
	s_waitcnt lgkmcnt(0)
	v_cmp_gt_u32_e32 vcc, s0, v0
	s_and_saveexec_b64 s[2:3], vcc
	s_cbranch_execz .LBB0_2
; %bb.1:
	s_load_dwordx2 s[2:3], s[4:5], 0x0
	v_lshlrev_b32_e32 v1, 2, v0
	v_cvt_f32_ubyte0_e32 v0, v0
	v_add_f32_e32 v0, s1, v0
	s_waitcnt lgkmcnt(0)
	global_store_dword v1, v0, s[2:3]
.LBB0_2:
	s_endpgm
	.section	.rodata,"a",@progbits
	.p2align	6, 0x0
	.amdhsa_kernel _ZN9rocsolver6v33100L6iota_nIfEEvPT_jS2_
		.amdhsa_group_segment_fixed_size 0
		.amdhsa_private_segment_fixed_size 0
		.amdhsa_kernarg_size 16
		.amdhsa_user_sgpr_count 6
		.amdhsa_user_sgpr_private_segment_buffer 1
		.amdhsa_user_sgpr_dispatch_ptr 0
		.amdhsa_user_sgpr_queue_ptr 0
		.amdhsa_user_sgpr_kernarg_segment_ptr 1
		.amdhsa_user_sgpr_dispatch_id 0
		.amdhsa_user_sgpr_flat_scratch_init 0
		.amdhsa_user_sgpr_kernarg_preload_length 0
		.amdhsa_user_sgpr_kernarg_preload_offset 0
		.amdhsa_user_sgpr_private_segment_size 0
		.amdhsa_uses_dynamic_stack 0
		.amdhsa_system_sgpr_private_segment_wavefront_offset 0
		.amdhsa_system_sgpr_workgroup_id_x 1
		.amdhsa_system_sgpr_workgroup_id_y 0
		.amdhsa_system_sgpr_workgroup_id_z 0
		.amdhsa_system_sgpr_workgroup_info 0
		.amdhsa_system_vgpr_workitem_id 0
		.amdhsa_next_free_vgpr 2
		.amdhsa_next_free_sgpr 6
		.amdhsa_accum_offset 4
		.amdhsa_reserve_vcc 1
		.amdhsa_reserve_flat_scratch 0
		.amdhsa_float_round_mode_32 0
		.amdhsa_float_round_mode_16_64 0
		.amdhsa_float_denorm_mode_32 3
		.amdhsa_float_denorm_mode_16_64 3
		.amdhsa_dx10_clamp 1
		.amdhsa_ieee_mode 1
		.amdhsa_fp16_overflow 0
		.amdhsa_tg_split 0
		.amdhsa_exception_fp_ieee_invalid_op 0
		.amdhsa_exception_fp_denorm_src 0
		.amdhsa_exception_fp_ieee_div_zero 0
		.amdhsa_exception_fp_ieee_overflow 0
		.amdhsa_exception_fp_ieee_underflow 0
		.amdhsa_exception_fp_ieee_inexact 0
		.amdhsa_exception_int_div_zero 0
	.end_amdhsa_kernel
	.section	.text._ZN9rocsolver6v33100L6iota_nIfEEvPT_jS2_,"axG",@progbits,_ZN9rocsolver6v33100L6iota_nIfEEvPT_jS2_,comdat
.Lfunc_end0:
	.size	_ZN9rocsolver6v33100L6iota_nIfEEvPT_jS2_, .Lfunc_end0-_ZN9rocsolver6v33100L6iota_nIfEEvPT_jS2_
                                        ; -- End function
	.section	.AMDGPU.csdata,"",@progbits
; Kernel info:
; codeLenInByte = 60
; NumSgprs: 10
; NumVgprs: 2
; NumAgprs: 0
; TotalNumVgprs: 2
; ScratchSize: 0
; MemoryBound: 0
; FloatMode: 240
; IeeeMode: 1
; LDSByteSize: 0 bytes/workgroup (compile time only)
; SGPRBlocks: 1
; VGPRBlocks: 0
; NumSGPRsForWavesPerEU: 10
; NumVGPRsForWavesPerEU: 2
; AccumOffset: 4
; Occupancy: 8
; WaveLimiterHint : 0
; COMPUTE_PGM_RSRC2:SCRATCH_EN: 0
; COMPUTE_PGM_RSRC2:USER_SGPR: 6
; COMPUTE_PGM_RSRC2:TRAP_HANDLER: 0
; COMPUTE_PGM_RSRC2:TGID_X_EN: 1
; COMPUTE_PGM_RSRC2:TGID_Y_EN: 0
; COMPUTE_PGM_RSRC2:TGID_Z_EN: 0
; COMPUTE_PGM_RSRC2:TIDIG_COMP_CNT: 0
; COMPUTE_PGM_RSRC3_GFX90A:ACCUM_OFFSET: 0
; COMPUTE_PGM_RSRC3_GFX90A:TG_SPLIT: 0
	.section	.text._ZN9rocsolver6v33100L16org2r_init_identIfPfEEviiiT0_iil,"axG",@progbits,_ZN9rocsolver6v33100L16org2r_init_identIfPfEEviiiT0_iil,comdat
	.globl	_ZN9rocsolver6v33100L16org2r_init_identIfPfEEviiiT0_iil ; -- Begin function _ZN9rocsolver6v33100L16org2r_init_identIfPfEEviiiT0_iil
	.p2align	8
	.type	_ZN9rocsolver6v33100L16org2r_init_identIfPfEEviiiT0_iil,@function
_ZN9rocsolver6v33100L16org2r_init_identIfPfEEviiiT0_iil: ; @_ZN9rocsolver6v33100L16org2r_init_identIfPfEEviiiT0_iil
; %bb.0:
	s_load_dword s9, s[4:5], 0x34
	s_load_dwordx4 s[0:3], s[4:5], 0x0
	v_bfe_u32 v1, v0, 10, 10
	v_and_b32_e32 v0, 0x3ff, v0
	s_waitcnt lgkmcnt(0)
	s_lshr_b32 s3, s9, 16
	s_and_b32 s9, s9, 0xffff
	s_mul_i32 s7, s7, s3
	s_mul_i32 s6, s6, s9
	v_add_u32_e32 v2, s7, v1
	v_add_u32_e32 v4, s6, v0
	v_cmp_gt_u32_e32 vcc, s0, v4
	v_cmp_gt_u32_e64 s[0:1], s1, v2
	s_and_b64 s[0:1], vcc, s[0:1]
	s_and_saveexec_b64 s[6:7], s[0:1]
	s_cbranch_execz .LBB1_5
; %bb.1:
	s_load_dwordx2 s[0:1], s[4:5], 0x18
	v_cmp_ne_u32_e32 vcc, v4, v2
	s_mov_b64 s[10:11], 0
                                        ; implicit-def: $vgpr3
                                        ; implicit-def: $vgpr0
	s_and_saveexec_b64 s[6:7], vcc
	s_xor_b64 s[6:7], exec, s[6:7]
	s_cbranch_execnz .LBB1_6
; %bb.2:
	s_andn2_saveexec_b64 s[2:3], s[6:7]
	s_cbranch_execnz .LBB1_13
.LBB1_3:
	s_or_b64 exec, exec, s[2:3]
	s_and_b64 exec, exec, s[10:11]
	s_cbranch_execz .LBB1_5
.LBB1_4:
	s_load_dwordx2 s[2:3], s[4:5], 0x20
	s_load_dwordx2 s[6:7], s[4:5], 0x10
	s_waitcnt lgkmcnt(0)
	s_ashr_i32 s1, s0, 31
	v_mov_b32_e32 v1, 0
	v_lshlrev_b64 v[0:1], 2, v[0:1]
	s_mul_i32 s3, s8, s3
	s_mul_hi_u32 s4, s8, s2
	s_mul_i32 s2, s8, s2
	s_add_i32 s3, s4, s3
	s_lshl_b64 s[2:3], s[2:3], 2
	s_add_u32 s2, s6, s2
	s_addc_u32 s3, s7, s3
	s_lshl_b64 s[0:1], s[0:1], 2
	s_add_u32 s0, s2, s0
	s_addc_u32 s1, s3, s1
	v_mov_b32_e32 v2, s1
	v_add_co_u32_e32 v0, vcc, s0, v0
	v_addc_co_u32_e32 v1, vcc, v2, v1, vcc
	global_store_dword v[0:1], v3, off
.LBB1_5:
	s_endpgm
.LBB1_6:
	v_cmp_le_u32_e32 vcc, v2, v4
                                        ; implicit-def: $sgpr9
                                        ; implicit-def: $vgpr0
	s_and_saveexec_b64 s[12:13], vcc
	s_xor_b64 s[12:13], exec, s[12:13]
	s_cbranch_execz .LBB1_10
; %bb.7:
	v_cmp_le_u32_e32 vcc, s2, v2
	s_mov_b64 s[2:3], 0
                                        ; implicit-def: $sgpr9
                                        ; implicit-def: $vgpr0
	s_and_saveexec_b64 s[10:11], vcc
	s_xor_b64 s[10:11], exec, s[10:11]
	s_cbranch_execz .LBB1_9
; %bb.8:
	s_mov_b64 s[2:3], exec
	s_waitcnt lgkmcnt(0)
	v_mad_u64_u32 v[0:1], s[14:15], v2, s1, v[4:5]
	s_mov_b32 s9, 0
.LBB1_9:
	s_or_b64 exec, exec, s[10:11]
	s_and_b64 s[10:11], s[2:3], exec
                                        ; implicit-def: $vgpr4
                                        ; implicit-def: $vgpr2
.LBB1_10:
	s_or_saveexec_b64 s[2:3], s[12:13]
	v_mov_b32_e32 v3, s9
	s_xor_b64 exec, exec, s[2:3]
	s_cbranch_execz .LBB1_12
; %bb.11:
	s_waitcnt lgkmcnt(0)
	v_mad_u64_u32 v[0:1], s[12:13], v2, s1, v[4:5]
	v_mov_b32_e32 v3, 0
	s_or_b64 s[10:11], s[10:11], exec
.LBB1_12:
	s_or_b64 exec, exec, s[2:3]
	s_and_b64 s[10:11], s[10:11], exec
                                        ; implicit-def: $vgpr2
	s_andn2_saveexec_b64 s[2:3], s[6:7]
	s_cbranch_execz .LBB1_3
.LBB1_13:
	s_waitcnt lgkmcnt(0)
	v_mad_u64_u32 v[0:1], s[6:7], v2, s1, v[2:3]
	v_mov_b32_e32 v3, 1.0
	s_or_b64 s[10:11], s[10:11], exec
	s_or_b64 exec, exec, s[2:3]
	s_and_b64 exec, exec, s[10:11]
	s_cbranch_execnz .LBB1_4
	s_branch .LBB1_5
	.section	.rodata,"a",@progbits
	.p2align	6, 0x0
	.amdhsa_kernel _ZN9rocsolver6v33100L16org2r_init_identIfPfEEviiiT0_iil
		.amdhsa_group_segment_fixed_size 0
		.amdhsa_private_segment_fixed_size 0
		.amdhsa_kernarg_size 296
		.amdhsa_user_sgpr_count 6
		.amdhsa_user_sgpr_private_segment_buffer 1
		.amdhsa_user_sgpr_dispatch_ptr 0
		.amdhsa_user_sgpr_queue_ptr 0
		.amdhsa_user_sgpr_kernarg_segment_ptr 1
		.amdhsa_user_sgpr_dispatch_id 0
		.amdhsa_user_sgpr_flat_scratch_init 0
		.amdhsa_user_sgpr_kernarg_preload_length 0
		.amdhsa_user_sgpr_kernarg_preload_offset 0
		.amdhsa_user_sgpr_private_segment_size 0
		.amdhsa_uses_dynamic_stack 0
		.amdhsa_system_sgpr_private_segment_wavefront_offset 0
		.amdhsa_system_sgpr_workgroup_id_x 1
		.amdhsa_system_sgpr_workgroup_id_y 1
		.amdhsa_system_sgpr_workgroup_id_z 1
		.amdhsa_system_sgpr_workgroup_info 0
		.amdhsa_system_vgpr_workitem_id 1
		.amdhsa_next_free_vgpr 6
		.amdhsa_next_free_sgpr 16
		.amdhsa_accum_offset 8
		.amdhsa_reserve_vcc 1
		.amdhsa_reserve_flat_scratch 0
		.amdhsa_float_round_mode_32 0
		.amdhsa_float_round_mode_16_64 0
		.amdhsa_float_denorm_mode_32 3
		.amdhsa_float_denorm_mode_16_64 3
		.amdhsa_dx10_clamp 1
		.amdhsa_ieee_mode 1
		.amdhsa_fp16_overflow 0
		.amdhsa_tg_split 0
		.amdhsa_exception_fp_ieee_invalid_op 0
		.amdhsa_exception_fp_denorm_src 0
		.amdhsa_exception_fp_ieee_div_zero 0
		.amdhsa_exception_fp_ieee_overflow 0
		.amdhsa_exception_fp_ieee_underflow 0
		.amdhsa_exception_fp_ieee_inexact 0
		.amdhsa_exception_int_div_zero 0
	.end_amdhsa_kernel
	.section	.text._ZN9rocsolver6v33100L16org2r_init_identIfPfEEviiiT0_iil,"axG",@progbits,_ZN9rocsolver6v33100L16org2r_init_identIfPfEEviiiT0_iil,comdat
.Lfunc_end1:
	.size	_ZN9rocsolver6v33100L16org2r_init_identIfPfEEviiiT0_iil, .Lfunc_end1-_ZN9rocsolver6v33100L16org2r_init_identIfPfEEviiiT0_iil
                                        ; -- End function
	.section	.AMDGPU.csdata,"",@progbits
; Kernel info:
; codeLenInByte = 388
; NumSgprs: 20
; NumVgprs: 6
; NumAgprs: 0
; TotalNumVgprs: 6
; ScratchSize: 0
; MemoryBound: 0
; FloatMode: 240
; IeeeMode: 1
; LDSByteSize: 0 bytes/workgroup (compile time only)
; SGPRBlocks: 2
; VGPRBlocks: 0
; NumSGPRsForWavesPerEU: 20
; NumVGPRsForWavesPerEU: 6
; AccumOffset: 8
; Occupancy: 8
; WaveLimiterHint : 0
; COMPUTE_PGM_RSRC2:SCRATCH_EN: 0
; COMPUTE_PGM_RSRC2:USER_SGPR: 6
; COMPUTE_PGM_RSRC2:TRAP_HANDLER: 0
; COMPUTE_PGM_RSRC2:TGID_X_EN: 1
; COMPUTE_PGM_RSRC2:TGID_Y_EN: 1
; COMPUTE_PGM_RSRC2:TGID_Z_EN: 1
; COMPUTE_PGM_RSRC2:TIDIG_COMP_CNT: 1
; COMPUTE_PGM_RSRC3_GFX90A:ACCUM_OFFSET: 1
; COMPUTE_PGM_RSRC3_GFX90A:TG_SPLIT: 0
	.section	.text._ZN9rocsolver6v33100L16larf_left_kernelILi1024EfiPfEEvT1_S3_T2_lS3_lPKT0_lS4_lS3_l,"axG",@progbits,_ZN9rocsolver6v33100L16larf_left_kernelILi1024EfiPfEEvT1_S3_T2_lS3_lPKT0_lS4_lS3_l,comdat
	.globl	_ZN9rocsolver6v33100L16larf_left_kernelILi1024EfiPfEEvT1_S3_T2_lS3_lPKT0_lS4_lS3_l ; -- Begin function _ZN9rocsolver6v33100L16larf_left_kernelILi1024EfiPfEEvT1_S3_T2_lS3_lPKT0_lS4_lS3_l
	.p2align	8
	.type	_ZN9rocsolver6v33100L16larf_left_kernelILi1024EfiPfEEvT1_S3_T2_lS3_lPKT0_lS4_lS3_l,@function
_ZN9rocsolver6v33100L16larf_left_kernelILi1024EfiPfEEvT1_S3_T2_lS3_lPKT0_lS4_lS3_l: ; @_ZN9rocsolver6v33100L16larf_left_kernelILi1024EfiPfEEvT1_S3_T2_lS3_lPKT0_lS4_lS3_l
; %bb.0:
	s_load_dwordx2 s[0:1], s[4:5], 0x50
	s_load_dwordx2 s[2:3], s[4:5], 0x40
	s_load_dword s6, s[4:5], 0x48
	s_load_dword s9, s[4:5], 0x0
	s_load_dwordx8 s[12:19], s[4:5], 0x20
	s_ashr_i32 s33, s8, 31
	s_waitcnt lgkmcnt(0)
	s_mul_i32 s1, s8, s1
	s_mul_hi_u32 s10, s8, s0
	s_add_i32 s1, s10, s1
	s_mul_i32 s10, s33, s0
	s_add_i32 s11, s1, s10
	s_mul_i32 s10, s8, s0
	s_mul_hi_i32 s25, s6, s7
	s_mul_i32 s24, s6, s7
	v_cmp_gt_i32_e64 s[0:1], s9, v0
	v_mov_b32_e32 v1, 0
	v_xad_u32 v4, v0, -1, s9
	s_and_saveexec_b64 s[6:7], s[0:1]
	s_cbranch_execz .LBB2_11
; %bb.1:
	s_load_dword s26, s[4:5], 0x18
	s_load_dwordx4 s[20:23], s[4:5], 0x8
	s_sub_i32 s4, 1, s9
	s_mul_i32 s13, s8, s13
	s_mov_b64 s[30:31], -1
	s_waitcnt lgkmcnt(0)
	s_ashr_i32 s27, s26, 31
	s_mul_i32 s28, s4, s26
	v_cmp_lt_i64_e64 s[4:5], s[26:27], 1
	s_and_b64 s[4:5], s[4:5], exec
	s_cselect_b32 s4, s28, 0
	s_mul_hi_u32 s28, s8, s12
	s_add_i32 s13, s28, s13
	s_mul_i32 s28, s33, s12
	s_add_i32 s13, s13, s28
	s_movk_i32 s28, 0x3ff
	s_ashr_i32 s5, s4, 31
	s_mul_i32 s12, s8, s12
	v_cmp_lt_u32_e32 vcc, s28, v4
	v_mov_b32_e32 v1, v0
	s_and_saveexec_b64 s[28:29], vcc
	s_cbranch_execz .LBB2_5
; %bb.2:
	s_lshl_b64 s[30:31], s[12:13], 2
	s_add_u32 s34, s20, s30
	s_addc_u32 s35, s21, s31
	s_lshl_b64 s[30:31], s[22:23], 2
	s_add_u32 s34, s34, s30
	s_addc_u32 s35, s35, s31
	s_lshl_b64 s[30:31], s[4:5], 2
	v_lshrrev_b32_e32 v1, 10, v4
	s_add_u32 s34, s34, s30
	v_add_u32_e32 v5, 1, v1
	s_addc_u32 s37, s35, s31
	v_and_b32_e32 v6, 0x7ffffe, v5
	v_or_b32_e32 v1, 0x400, v0
	v_lshlrev_b32_e32 v2, 2, v0
	s_mov_b32 s35, s26
	s_mov_b32 s36, s27
	v_add3_u32 v7, v2, 0, 64
	s_mov_b64 s[30:31], 0
	v_mov_b32_e32 v8, s37
	v_mov_b32_e32 v9, v6
	v_pk_mov_b32 v[2:3], v[0:1], v[0:1] op_sel:[0,1]
.LBB2_3:                                ; =>This Inner Loop Header: Depth=1
	v_mad_u64_u32 v[12:13], s[38:39], s26, v2, 0
	v_mov_b32_e32 v16, v13
	v_mad_u64_u32 v[10:11], s[38:39], s35, v3, 0
	v_mad_u64_u32 v[16:17], s[38:39], s27, v2, v[16:17]
	v_mov_b32_e32 v14, v11
	v_mov_b32_e32 v13, v16
	v_mad_u64_u32 v[14:15], s[38:39], s36, v3, v[14:15]
	v_lshlrev_b64 v[12:13], 2, v[12:13]
	v_mov_b32_e32 v11, v14
	v_add_co_u32_e32 v12, vcc, s34, v12
	v_lshlrev_b64 v[10:11], 2, v[10:11]
	v_addc_co_u32_e32 v13, vcc, v8, v13, vcc
	v_add_co_u32_e32 v10, vcc, s34, v10
	v_addc_co_u32_e32 v11, vcc, v8, v11, vcc
	global_load_dword v1, v[12:13], off
	global_load_dword v14, v[10:11], off
	v_add_u32_e32 v9, -2, v9
	v_cmp_eq_u32_e32 vcc, 0, v9
	v_add_u32_e32 v3, 0x800, v3
	v_add_u32_e32 v2, 0x800, v2
	s_or_b64 s[30:31], vcc, s[30:31]
	s_waitcnt vmcnt(0)
	ds_write2st64_b32 v7, v1, v14 offset1:16
	v_add_u32_e32 v7, 0x2000, v7
	s_andn2_b64 exec, exec, s[30:31]
	s_cbranch_execnz .LBB2_3
; %bb.4:
	s_or_b64 exec, exec, s[30:31]
	v_cmp_ne_u32_e32 vcc, v5, v6
	v_lshl_or_b32 v1, v6, 10, v0
	s_orn2_b64 s[30:31], vcc, exec
.LBB2_5:
	s_or_b64 exec, exec, s[28:29]
	s_and_saveexec_b64 s[28:29], s[30:31]
	s_cbranch_execz .LBB2_8
; %bb.6:
	s_lshl_b64 s[12:13], s[12:13], 2
	s_lshl_b64 s[22:23], s[22:23], 2
	;; [unrolled: 1-line block ×3, first 2 shown]
	v_lshlrev_b32_e32 v2, 2, v1
	s_add_u32 s4, s20, s4
	v_add3_u32 v5, v2, 0, 64
	v_mad_u64_u32 v[2:3], s[30:31], s26, v1, 0
	s_addc_u32 s5, s21, s5
	v_mov_b32_e32 v6, v3
	s_add_u32 s4, s4, s22
	v_mad_u64_u32 v[6:7], s[30:31], s27, v1, v[6:7]
	s_addc_u32 s5, s5, s23
	v_mov_b32_e32 v3, v6
	s_add_u32 s4, s4, s12
	v_lshlrev_b64 v[2:3], 2, v[2:3]
	s_addc_u32 s5, s5, s13
	v_mov_b32_e32 v6, s5
	v_add_co_u32_e32 v2, vcc, s4, v2
	s_lshl_b64 s[4:5], s[26:27], 12
	v_addc_co_u32_e32 v3, vcc, v6, v3, vcc
	s_mov_b64 s[12:13], 0
	v_mov_b32_e32 v6, s5
.LBB2_7:                                ; =>This Inner Loop Header: Depth=1
	global_load_dword v7, v[2:3], off
	v_add_co_u32_e32 v2, vcc, s4, v2
	v_add_u32_e32 v1, 0x400, v1
	v_addc_co_u32_e32 v3, vcc, v3, v6, vcc
	v_cmp_le_i32_e32 vcc, s9, v1
	s_or_b64 s[12:13], vcc, s[12:13]
	s_waitcnt vmcnt(0)
	ds_write_b32 v5, v7
	v_add_u32_e32 v5, 0x1000, v5
	s_andn2_b64 exec, exec, s[12:13]
	s_cbranch_execnz .LBB2_7
.LBB2_8:
	s_or_b64 exec, exec, s[28:29]
	s_lshl_b64 s[4:5], s[10:11], 2
	s_lshl_b64 s[12:13], s[24:25], 2
	s_add_u32 s12, s4, s12
	s_addc_u32 s13, s5, s13
	s_lshl_b64 s[4:5], s[2:3], 2
	s_add_u32 s4, s12, s4
	s_addc_u32 s5, s13, s5
	s_add_u32 s4, s18, s4
	v_lshlrev_b32_e32 v2, 2, v0
	s_addc_u32 s5, s19, s5
	v_add3_u32 v5, v2, 0, 64
	v_mov_b32_e32 v3, s5
	v_add_co_u32_e32 v2, vcc, s4, v2
	v_mov_b32_e32 v1, 0
	v_addc_co_u32_e32 v3, vcc, 0, v3, vcc
	s_mov_b64 s[4:5], 0
	v_mov_b32_e32 v6, v0
.LBB2_9:                                ; =>This Inner Loop Header: Depth=1
	global_load_dword v7, v[2:3], off
	ds_read_b32 v8, v5
	v_add_co_u32_e32 v2, vcc, 0x1000, v2
	v_add_u32_e32 v6, 0x400, v6
	v_addc_co_u32_e32 v3, vcc, 0, v3, vcc
	v_cmp_le_i32_e32 vcc, s9, v6
	v_add_u32_e32 v5, 0x1000, v5
	s_or_b64 s[4:5], vcc, s[4:5]
	s_waitcnt vmcnt(0) lgkmcnt(0)
	v_mul_f32_e32 v7, v7, v8
	v_add_f32_e32 v1, v1, v7
	s_andn2_b64 exec, exec, s[4:5]
	s_cbranch_execnz .LBB2_9
; %bb.10:
	s_or_b64 exec, exec, s[4:5]
.LBB2_11:
	s_or_b64 exec, exec, s[6:7]
	v_mbcnt_lo_u32_b32 v2, -1, 0
	v_mbcnt_hi_u32_b32 v2, -1, v2
	v_and_b32_e32 v3, 63, v2
	v_cmp_ne_u32_e32 vcc, 63, v3
	v_addc_co_u32_e32 v5, vcc, 0, v2, vcc
	v_lshlrev_b32_e32 v5, 2, v5
	ds_bpermute_b32 v5, v5, v1
	v_cmp_gt_u32_e32 vcc, 62, v3
	v_cndmask_b32_e64 v6, 0, 1, vcc
	v_cmp_gt_u32_e32 vcc, 60, v3
	s_waitcnt lgkmcnt(0)
	v_add_f32_e32 v1, v1, v5
	v_lshlrev_b32_e32 v5, 1, v6
	v_add_lshl_u32 v5, v5, v2, 2
	ds_bpermute_b32 v5, v5, v1
	v_cndmask_b32_e64 v6, 0, 1, vcc
	v_cmp_gt_u32_e32 vcc, 56, v3
	s_waitcnt lgkmcnt(0)
	v_add_f32_e32 v1, v1, v5
	v_lshlrev_b32_e32 v5, 2, v6
	v_add_lshl_u32 v5, v5, v2, 2
	ds_bpermute_b32 v5, v5, v1
	;; [unrolled: 7-line block ×3, first 2 shown]
	v_cndmask_b32_e64 v6, 0, 1, vcc
	v_cmp_gt_u32_e32 vcc, 32, v3
	v_cndmask_b32_e64 v3, 0, 1, vcc
	v_lshlrev_b32_e32 v3, 5, v3
	s_waitcnt lgkmcnt(0)
	v_add_f32_e32 v1, v1, v5
	v_lshlrev_b32_e32 v5, 4, v6
	v_add_lshl_u32 v5, v5, v2, 2
	ds_bpermute_b32 v5, v5, v1
	v_add_lshl_u32 v2, v3, v2, 2
	v_and_b32_e32 v3, 63, v0
	v_cmp_eq_u32_e32 vcc, 0, v3
	s_waitcnt lgkmcnt(0)
	v_add_f32_e32 v1, v1, v5
	ds_bpermute_b32 v2, v2, v1
	s_waitcnt lgkmcnt(0)
	v_add_f32_e32 v1, v1, v2
	s_and_saveexec_b64 s[4:5], vcc
	s_cbranch_execz .LBB2_13
; %bb.12:
	v_lshrrev_b32_e32 v2, 4, v0
	v_add_u32_e32 v2, 0, v2
	ds_write_b32 v2, v1
.LBB2_13:
	s_or_b64 exec, exec, s[4:5]
	v_cmp_eq_u32_e32 vcc, 0, v0
	s_waitcnt lgkmcnt(0)
	s_barrier
	s_and_saveexec_b64 s[4:5], vcc
	s_cbranch_execz .LBB2_15
; %bb.14:
	v_mov_b32_e32 v5, 0
	ds_read2_b32 v[2:3], v5 offset0:1 offset1:2
	ds_read2_b32 v[6:7], v5 offset0:3 offset1:4
	;; [unrolled: 1-line block ×4, first 2 shown]
	s_waitcnt lgkmcnt(3)
	v_add_f32_e32 v1, v1, v2
	v_add_f32_e32 v1, v1, v3
	s_waitcnt lgkmcnt(2)
	v_add_f32_e32 v1, v1, v6
	v_add_f32_e32 v1, v1, v7
	ds_read2_b32 v[2:3], v5 offset0:9 offset1:10
	s_waitcnt lgkmcnt(2)
	v_add_f32_e32 v1, v1, v8
	v_add_f32_e32 v1, v1, v9
	s_waitcnt lgkmcnt(1)
	v_add_f32_e32 v1, v1, v10
	v_add_f32_e32 v1, v1, v11
	ds_read2_b32 v[6:7], v5 offset0:11 offset1:12
	ds_read2_b32 v[8:9], v5 offset0:13 offset1:14
	ds_read_b32 v10, v5 offset:60
	s_waitcnt lgkmcnt(3)
	v_add_f32_e32 v1, v1, v2
	v_add_f32_e32 v1, v1, v3
	s_waitcnt lgkmcnt(2)
	v_add_f32_e32 v1, v1, v6
	v_add_f32_e32 v1, v1, v7
	;; [unrolled: 3-line block ×3, first 2 shown]
	s_waitcnt lgkmcnt(0)
	v_add_f32_e32 v1, v1, v10
	ds_write_b32 v5, v1
.LBB2_15:
	s_or_b64 exec, exec, s[4:5]
	s_waitcnt lgkmcnt(0)
	s_barrier
	s_and_saveexec_b64 s[4:5], s[0:1]
	s_cbranch_execz .LBB2_23
; %bb.16:
	s_mul_i32 s0, s8, s17
	s_mul_hi_u32 s1, s8, s16
	s_add_i32 s0, s1, s0
	s_mul_i32 s1, s33, s16
	s_add_i32 s1, s0, s1
	s_mul_i32 s0, s8, s16
	s_lshl_b64 s[0:1], s[0:1], 2
	s_add_u32 s0, s14, s0
	s_addc_u32 s1, s15, s1
	v_mov_b32_e32 v5, 0
	s_load_dword s0, s[0:1], 0x0
	ds_read_b32 v1, v5
	s_mov_b64 s[4:5], -1
	s_waitcnt lgkmcnt(0)
	v_mul_f32_e64 v2, v1, -s0
	s_movk_i32 s0, 0x3ff
	v_cmp_lt_u32_e32 vcc, s0, v4
	s_and_saveexec_b64 s[0:1], vcc
	s_cbranch_execz .LBB2_20
; %bb.17:
	s_lshl_b64 s[4:5], s[10:11], 2
	s_add_u32 s6, s18, s4
	s_addc_u32 s7, s19, s5
	s_lshl_b64 s[4:5], s[2:3], 2
	s_add_u32 s6, s6, s4
	v_lshrrev_b32_e32 v1, 10, v4
	s_addc_u32 s7, s7, s5
	s_lshl_b64 s[4:5], s[24:25], 2
	v_add_u32_e32 v8, 1, v1
	s_add_u32 s6, s6, s4
	s_addc_u32 s7, s7, s5
	v_and_b32_e32 v9, 0x7ffffe, v8
	v_or_b32_e32 v1, 0x400, v0
	v_lshlrev_b32_e32 v4, 2, v0
	v_mov_b32_e32 v3, v2
	v_add3_u32 v10, v4, 0, 64
	s_mov_b64 s[4:5], 0
	v_mov_b32_e32 v11, s7
	v_mov_b32_e32 v12, v9
	v_pk_mov_b32 v[6:7], v[0:1], v[0:1] op_sel:[0,1]
.LBB2_18:                               ; =>This Inner Loop Header: Depth=1
	v_mov_b32_e32 v4, v6
	v_lshlrev_b64 v[14:15], 2, v[4:5]
	v_mov_b32_e32 v4, v7
	v_add_co_u32_e32 v14, vcc, s6, v14
	v_addc_co_u32_e32 v15, vcc, v11, v15, vcc
	v_lshlrev_b64 v[16:17], 2, v[4:5]
	v_add_co_u32_e32 v16, vcc, s6, v16
	v_addc_co_u32_e32 v17, vcc, v11, v17, vcc
	global_load_dword v18, v[14:15], off
	global_load_dword v19, v[16:17], off
	ds_read2st64_b32 v[20:21], v10 offset1:16
	v_add_u32_e32 v12, -2, v12
	v_cmp_eq_u32_e32 vcc, 0, v12
	v_add_u32_e32 v6, 0x800, v6
	v_add_u32_e32 v10, 0x2000, v10
	;; [unrolled: 1-line block ×3, first 2 shown]
	s_or_b64 s[4:5], vcc, s[4:5]
	s_waitcnt vmcnt(0) lgkmcnt(0)
	v_pk_fma_f32 v[18:19], v[2:3], v[20:21], v[18:19]
	global_store_dword v[14:15], v18, off
	global_store_dword v[16:17], v19, off
	s_andn2_b64 exec, exec, s[4:5]
	s_cbranch_execnz .LBB2_18
; %bb.19:
	s_or_b64 exec, exec, s[4:5]
	v_cmp_ne_u32_e32 vcc, v8, v9
	v_lshl_or_b32 v0, v9, 10, v0
	s_orn2_b64 s[4:5], vcc, exec
.LBB2_20:
	s_or_b64 exec, exec, s[0:1]
	s_and_b64 exec, exec, s[4:5]
	s_cbranch_execz .LBB2_23
; %bb.21:
	s_lshl_b64 s[0:1], s[10:11], 2
	s_lshl_b64 s[4:5], s[24:25], 2
	s_add_u32 s4, s0, s4
	s_addc_u32 s5, s1, s5
	s_lshl_b64 s[0:1], s[2:3], 2
	s_add_u32 s0, s4, s0
	v_lshlrev_b32_e32 v1, 2, v0
	s_addc_u32 s1, s5, s1
	v_add3_u32 v3, v1, 0, 64
	v_mov_b32_e32 v1, 0
	s_add_u32 s0, s18, s0
	v_lshlrev_b64 v[4:5], 2, v[0:1]
	s_addc_u32 s1, s19, s1
	v_mov_b32_e32 v1, s1
	v_add_co_u32_e32 v4, vcc, s0, v4
	v_addc_co_u32_e32 v5, vcc, v1, v5, vcc
	s_mov_b64 s[0:1], 0
.LBB2_22:                               ; =>This Inner Loop Header: Depth=1
	global_load_dword v1, v[4:5], off
	ds_read_b32 v6, v3
	v_add_u32_e32 v0, 0x400, v0
	v_cmp_le_i32_e32 vcc, s9, v0
	s_or_b64 s[0:1], vcc, s[0:1]
	v_add_u32_e32 v3, 0x1000, v3
	s_waitcnt vmcnt(0) lgkmcnt(0)
	v_fmac_f32_e32 v1, v2, v6
	global_store_dword v[4:5], v1, off
	v_add_co_u32_e32 v4, vcc, 0x1000, v4
	v_addc_co_u32_e32 v5, vcc, 0, v5, vcc
	s_andn2_b64 exec, exec, s[0:1]
	s_cbranch_execnz .LBB2_22
.LBB2_23:
	s_endpgm
	.section	.rodata,"a",@progbits
	.p2align	6, 0x0
	.amdhsa_kernel _ZN9rocsolver6v33100L16larf_left_kernelILi1024EfiPfEEvT1_S3_T2_lS3_lPKT0_lS4_lS3_l
		.amdhsa_group_segment_fixed_size 0
		.amdhsa_private_segment_fixed_size 0
		.amdhsa_kernarg_size 88
		.amdhsa_user_sgpr_count 6
		.amdhsa_user_sgpr_private_segment_buffer 1
		.amdhsa_user_sgpr_dispatch_ptr 0
		.amdhsa_user_sgpr_queue_ptr 0
		.amdhsa_user_sgpr_kernarg_segment_ptr 1
		.amdhsa_user_sgpr_dispatch_id 0
		.amdhsa_user_sgpr_flat_scratch_init 0
		.amdhsa_user_sgpr_kernarg_preload_length 0
		.amdhsa_user_sgpr_kernarg_preload_offset 0
		.amdhsa_user_sgpr_private_segment_size 0
		.amdhsa_uses_dynamic_stack 0
		.amdhsa_system_sgpr_private_segment_wavefront_offset 0
		.amdhsa_system_sgpr_workgroup_id_x 1
		.amdhsa_system_sgpr_workgroup_id_y 1
		.amdhsa_system_sgpr_workgroup_id_z 1
		.amdhsa_system_sgpr_workgroup_info 0
		.amdhsa_system_vgpr_workitem_id 0
		.amdhsa_next_free_vgpr 22
		.amdhsa_next_free_sgpr 40
		.amdhsa_accum_offset 24
		.amdhsa_reserve_vcc 1
		.amdhsa_reserve_flat_scratch 0
		.amdhsa_float_round_mode_32 0
		.amdhsa_float_round_mode_16_64 0
		.amdhsa_float_denorm_mode_32 3
		.amdhsa_float_denorm_mode_16_64 3
		.amdhsa_dx10_clamp 1
		.amdhsa_ieee_mode 1
		.amdhsa_fp16_overflow 0
		.amdhsa_tg_split 0
		.amdhsa_exception_fp_ieee_invalid_op 0
		.amdhsa_exception_fp_denorm_src 0
		.amdhsa_exception_fp_ieee_div_zero 0
		.amdhsa_exception_fp_ieee_overflow 0
		.amdhsa_exception_fp_ieee_underflow 0
		.amdhsa_exception_fp_ieee_inexact 0
		.amdhsa_exception_int_div_zero 0
	.end_amdhsa_kernel
	.section	.text._ZN9rocsolver6v33100L16larf_left_kernelILi1024EfiPfEEvT1_S3_T2_lS3_lPKT0_lS4_lS3_l,"axG",@progbits,_ZN9rocsolver6v33100L16larf_left_kernelILi1024EfiPfEEvT1_S3_T2_lS3_lPKT0_lS4_lS3_l,comdat
.Lfunc_end2:
	.size	_ZN9rocsolver6v33100L16larf_left_kernelILi1024EfiPfEEvT1_S3_T2_lS3_lPKT0_lS4_lS3_l, .Lfunc_end2-_ZN9rocsolver6v33100L16larf_left_kernelILi1024EfiPfEEvT1_S3_T2_lS3_lPKT0_lS4_lS3_l
                                        ; -- End function
	.section	.AMDGPU.csdata,"",@progbits
; Kernel info:
; codeLenInByte = 1812
; NumSgprs: 44
; NumVgprs: 22
; NumAgprs: 0
; TotalNumVgprs: 22
; ScratchSize: 0
; MemoryBound: 0
; FloatMode: 240
; IeeeMode: 1
; LDSByteSize: 0 bytes/workgroup (compile time only)
; SGPRBlocks: 5
; VGPRBlocks: 2
; NumSGPRsForWavesPerEU: 44
; NumVGPRsForWavesPerEU: 22
; AccumOffset: 24
; Occupancy: 8
; WaveLimiterHint : 0
; COMPUTE_PGM_RSRC2:SCRATCH_EN: 0
; COMPUTE_PGM_RSRC2:USER_SGPR: 6
; COMPUTE_PGM_RSRC2:TRAP_HANDLER: 0
; COMPUTE_PGM_RSRC2:TGID_X_EN: 1
; COMPUTE_PGM_RSRC2:TGID_Y_EN: 1
; COMPUTE_PGM_RSRC2:TGID_Z_EN: 1
; COMPUTE_PGM_RSRC2:TIDIG_COMP_CNT: 0
; COMPUTE_PGM_RSRC3_GFX90A:ACCUM_OFFSET: 5
; COMPUTE_PGM_RSRC3_GFX90A:TG_SPLIT: 0
	.section	.text._ZN9rocsolver6v33100L17larf_right_kernelILi1024EfiPfEEvT1_S3_T2_lS3_lPKT0_lS4_lS3_l,"axG",@progbits,_ZN9rocsolver6v33100L17larf_right_kernelILi1024EfiPfEEvT1_S3_T2_lS3_lPKT0_lS4_lS3_l,comdat
	.globl	_ZN9rocsolver6v33100L17larf_right_kernelILi1024EfiPfEEvT1_S3_T2_lS3_lPKT0_lS4_lS3_l ; -- Begin function _ZN9rocsolver6v33100L17larf_right_kernelILi1024EfiPfEEvT1_S3_T2_lS3_lPKT0_lS4_lS3_l
	.p2align	8
	.type	_ZN9rocsolver6v33100L17larf_right_kernelILi1024EfiPfEEvT1_S3_T2_lS3_lPKT0_lS4_lS3_l,@function
_ZN9rocsolver6v33100L17larf_right_kernelILi1024EfiPfEEvT1_S3_T2_lS3_lPKT0_lS4_lS3_l: ; @_ZN9rocsolver6v33100L17larf_right_kernelILi1024EfiPfEEvT1_S3_T2_lS3_lPKT0_lS4_lS3_l
; %bb.0:
	s_load_dword s9, s[4:5], 0x4
	s_load_dwordx8 s[12:19], s[4:5], 0x20
	s_load_dwordx2 s[10:11], s[4:5], 0x40
	s_load_dword s2, s[4:5], 0x48
	s_load_dwordx2 s[0:1], s[4:5], 0x50
	s_ashr_i32 s38, s8, 31
	s_mov_b32 s6, s7
	s_ashr_i32 s7, s7, 31
	s_waitcnt lgkmcnt(0)
	v_cmp_gt_i32_e32 vcc, s9, v0
	v_mov_b32_e32 v1, 0
	s_mul_i32 s33, s0, s38
	s_mul_hi_u32 s36, s0, s8
	s_mul_i32 s37, s1, s8
	s_mul_i32 s24, s0, s8
	s_and_saveexec_b64 s[26:27], vcc
	s_cbranch_execz .LBB3_11
; %bb.1:
	s_load_dword s28, s[4:5], 0x18
	s_load_dwordx4 s[20:23], s[4:5], 0x8
	s_sub_i32 s0, 1, s9
	s_mul_i32 s3, s8, s13
	v_xad_u32 v2, v0, -1, s9
	s_waitcnt lgkmcnt(0)
	s_ashr_i32 s29, s28, 31
	s_mul_i32 s4, s0, s28
	v_cmp_lt_i64_e64 s[0:1], s[28:29], 1
	s_and_b64 s[0:1], s[0:1], exec
	s_mul_hi_u32 s0, s8, s12
	s_cselect_b32 s4, s4, 0
	s_add_i32 s0, s0, s3
	s_mul_i32 s1, s38, s12
	s_add_i32 s13, s0, s1
	s_movk_i32 s0, 0x3ff
	s_ashr_i32 s5, s4, 31
	s_mul_i32 s12, s8, s12
	v_cmp_lt_u32_e64 s[0:1], s0, v2
	s_mov_b64 s[34:35], -1
	v_mov_b32_e32 v1, v0
	s_and_saveexec_b64 s[30:31], s[0:1]
	s_cbranch_execz .LBB3_5
; %bb.2:
	s_lshl_b64 s[0:1], s[12:13], 2
	s_add_u32 s3, s20, s0
	s_addc_u32 s25, s21, s1
	s_lshl_b64 s[0:1], s[22:23], 2
	s_add_u32 s3, s3, s0
	s_addc_u32 s25, s25, s1
	s_lshl_b64 s[0:1], s[4:5], 2
	v_lshrrev_b32_e32 v1, 10, v2
	s_add_u32 s3, s3, s0
	v_add_u32_e32 v4, 1, v1
	s_addc_u32 s0, s25, s1
	v_and_b32_e32 v5, 0x7ffffe, v4
	v_or_b32_e32 v1, 0x400, v0
	v_lshlrev_b32_e32 v2, 2, v0
	s_mov_b32 s25, s28
	s_mov_b32 s39, s29
	v_add3_u32 v6, v2, 0, 64
	s_mov_b64 s[34:35], 0
	v_mov_b32_e32 v7, s0
	v_mov_b32_e32 v8, v5
	v_pk_mov_b32 v[2:3], v[0:1], v[0:1] op_sel:[0,1]
.LBB3_3:                                ; =>This Inner Loop Header: Depth=1
	v_mad_u64_u32 v[12:13], s[0:1], s28, v2, 0
	v_mov_b32_e32 v16, v13
	v_mad_u64_u32 v[10:11], s[0:1], s25, v3, 0
	v_mad_u64_u32 v[16:17], s[0:1], s29, v2, v[16:17]
	v_mov_b32_e32 v14, v11
	v_mov_b32_e32 v13, v16
	v_mad_u64_u32 v[14:15], s[0:1], s39, v3, v[14:15]
	v_lshlrev_b64 v[12:13], 2, v[12:13]
	v_mov_b32_e32 v11, v14
	v_add_co_u32_e64 v12, s[0:1], s3, v12
	v_lshlrev_b64 v[10:11], 2, v[10:11]
	v_addc_co_u32_e64 v13, s[0:1], v7, v13, s[0:1]
	v_add_co_u32_e64 v10, s[0:1], s3, v10
	v_addc_co_u32_e64 v11, s[0:1], v7, v11, s[0:1]
	global_load_dword v1, v[12:13], off
	global_load_dword v9, v[10:11], off
	v_add_u32_e32 v8, -2, v8
	v_cmp_eq_u32_e64 s[0:1], 0, v8
	v_add_u32_e32 v3, 0x800, v3
	v_add_u32_e32 v2, 0x800, v2
	s_or_b64 s[34:35], s[0:1], s[34:35]
	s_waitcnt vmcnt(0)
	ds_write2st64_b32 v6, v1, v9 offset1:16
	v_add_u32_e32 v6, 0x2000, v6
	s_andn2_b64 exec, exec, s[34:35]
	s_cbranch_execnz .LBB3_3
; %bb.4:
	s_or_b64 exec, exec, s[34:35]
	v_cmp_ne_u32_e64 s[0:1], v4, v5
	v_lshl_or_b32 v1, v5, 10, v0
	s_orn2_b64 s[34:35], s[0:1], exec
.LBB3_5:
	s_or_b64 exec, exec, s[30:31]
	s_and_saveexec_b64 s[30:31], s[34:35]
	s_cbranch_execz .LBB3_8
; %bb.6:
	v_lshlrev_b32_e32 v2, 2, v1
	v_add3_u32 v4, v2, 0, 64
	s_lshl_b64 s[0:1], s[12:13], 2
	v_mad_u64_u32 v[2:3], s[12:13], s28, v1, 0
	v_mov_b32_e32 v6, v3
	v_mad_u64_u32 v[6:7], s[12:13], s29, v1, v[6:7]
	s_lshl_b64 s[12:13], s[22:23], 2
	s_lshl_b64 s[4:5], s[4:5], 2
	s_add_u32 s3, s20, s4
	s_addc_u32 s4, s21, s5
	s_add_u32 s3, s3, s12
	s_addc_u32 s4, s4, s13
	v_mov_b32_e32 v3, v6
	s_add_u32 s0, s3, s0
	v_lshlrev_b64 v[2:3], 2, v[2:3]
	s_addc_u32 s1, s4, s1
	v_mov_b32_e32 v5, s1
	v_add_co_u32_e64 v2, s[0:1], s0, v2
	s_lshl_b64 s[4:5], s[28:29], 12
	v_addc_co_u32_e64 v3, s[0:1], v5, v3, s[0:1]
	s_mov_b64 s[12:13], 0
	v_mov_b32_e32 v5, s5
.LBB3_7:                                ; =>This Inner Loop Header: Depth=1
	global_load_dword v6, v[2:3], off
	v_add_co_u32_e64 v2, s[0:1], s4, v2
	v_add_u32_e32 v1, 0x400, v1
	v_addc_co_u32_e64 v3, s[0:1], v3, v5, s[0:1]
	v_cmp_le_i32_e64 s[0:1], s9, v1
	s_or_b64 s[12:13], s[0:1], s[12:13]
	s_waitcnt vmcnt(0)
	ds_write_b32 v4, v6
	v_add_u32_e32 v4, 0x1000, v4
	s_andn2_b64 exec, exec, s[12:13]
	s_cbranch_execnz .LBB3_7
.LBB3_8:
	s_or_b64 exec, exec, s[30:31]
	s_add_i32 s0, s36, s33
	s_add_i32 s25, s0, s37
	v_mad_i64_i32 v[2:3], s[4:5], s2, v0, 0
	s_ashr_i32 s3, s2, 31
	s_lshl_b64 s[0:1], s[24:25], 2
	s_lshl_b64 s[4:5], s[10:11], 2
	;; [unrolled: 1-line block ×3, first 2 shown]
	s_add_u32 s12, s18, s12
	s_addc_u32 s13, s19, s13
	s_add_u32 s4, s12, s4
	s_addc_u32 s5, s13, s5
	s_add_u32 s0, s4, s0
	v_lshlrev_b32_e32 v1, 2, v0
	v_lshlrev_b64 v[2:3], 2, v[2:3]
	s_addc_u32 s1, s5, s1
	v_add3_u32 v4, v1, 0, 64
	v_mov_b32_e32 v1, s1
	v_add_co_u32_e64 v2, s[0:1], s0, v2
	s_lshl_b64 s[12:13], s[2:3], 12
	v_addc_co_u32_e64 v3, s[0:1], v1, v3, s[0:1]
	s_mov_b64 s[4:5], 0
	v_mov_b32_e32 v1, 0
	v_mov_b32_e32 v5, s13
	v_mov_b32_e32 v6, v0
.LBB3_9:                                ; =>This Inner Loop Header: Depth=1
	global_load_dword v7, v[2:3], off
	ds_read_b32 v8, v4
	v_add_co_u32_e64 v2, s[0:1], s12, v2
	v_add_u32_e32 v6, 0x400, v6
	v_addc_co_u32_e64 v3, s[0:1], v3, v5, s[0:1]
	v_cmp_le_i32_e64 s[0:1], s9, v6
	v_add_u32_e32 v4, 0x1000, v4
	s_or_b64 s[4:5], s[0:1], s[4:5]
	s_waitcnt vmcnt(0) lgkmcnt(0)
	v_mul_f32_e32 v7, v7, v8
	v_add_f32_e32 v1, v1, v7
	s_andn2_b64 exec, exec, s[4:5]
	s_cbranch_execnz .LBB3_9
; %bb.10:
	s_or_b64 exec, exec, s[4:5]
.LBB3_11:
	s_or_b64 exec, exec, s[26:27]
	v_mbcnt_lo_u32_b32 v2, -1, 0
	v_mbcnt_hi_u32_b32 v2, -1, v2
	v_and_b32_e32 v3, 63, v2
	v_cmp_ne_u32_e64 s[0:1], 63, v3
	v_addc_co_u32_e64 v4, s[0:1], 0, v2, s[0:1]
	v_lshlrev_b32_e32 v4, 2, v4
	ds_bpermute_b32 v4, v4, v1
	v_cmp_gt_u32_e64 s[0:1], 62, v3
	v_cndmask_b32_e64 v5, 0, 1, s[0:1]
	v_cmp_gt_u32_e64 s[0:1], 60, v3
	s_waitcnt lgkmcnt(0)
	v_add_f32_e32 v1, v1, v4
	v_lshlrev_b32_e32 v4, 1, v5
	v_add_lshl_u32 v4, v4, v2, 2
	ds_bpermute_b32 v4, v4, v1
	v_cndmask_b32_e64 v5, 0, 1, s[0:1]
	v_cmp_gt_u32_e64 s[0:1], 56, v3
	s_waitcnt lgkmcnt(0)
	v_add_f32_e32 v1, v1, v4
	v_lshlrev_b32_e32 v4, 2, v5
	v_add_lshl_u32 v4, v4, v2, 2
	ds_bpermute_b32 v4, v4, v1
	;; [unrolled: 7-line block ×3, first 2 shown]
	v_cndmask_b32_e64 v5, 0, 1, s[0:1]
	v_cmp_gt_u32_e64 s[0:1], 32, v3
	v_cndmask_b32_e64 v3, 0, 1, s[0:1]
	v_lshlrev_b32_e32 v3, 5, v3
	s_waitcnt lgkmcnt(0)
	v_add_f32_e32 v1, v1, v4
	v_lshlrev_b32_e32 v4, 4, v5
	v_add_lshl_u32 v4, v4, v2, 2
	ds_bpermute_b32 v4, v4, v1
	v_add_lshl_u32 v2, v3, v2, 2
	v_and_b32_e32 v3, 63, v0
	v_cmp_eq_u32_e64 s[0:1], 0, v3
	s_waitcnt lgkmcnt(0)
	v_add_f32_e32 v1, v1, v4
	ds_bpermute_b32 v2, v2, v1
	s_waitcnt lgkmcnt(0)
	v_add_f32_e32 v1, v1, v2
	s_and_saveexec_b64 s[4:5], s[0:1]
	s_cbranch_execz .LBB3_13
; %bb.12:
	v_lshrrev_b32_e32 v2, 4, v0
	v_add_u32_e32 v2, 0, v2
	ds_write_b32 v2, v1
.LBB3_13:
	s_or_b64 exec, exec, s[4:5]
	v_cmp_eq_u32_e64 s[0:1], 0, v0
	s_waitcnt lgkmcnt(0)
	s_barrier
	s_and_saveexec_b64 s[4:5], s[0:1]
	s_cbranch_execz .LBB3_15
; %bb.14:
	v_mov_b32_e32 v10, 0
	ds_read2_b32 v[2:3], v10 offset0:1 offset1:2
	ds_read2_b32 v[4:5], v10 offset0:3 offset1:4
	;; [unrolled: 1-line block ×4, first 2 shown]
	s_waitcnt lgkmcnt(3)
	v_add_f32_e32 v1, v1, v2
	v_add_f32_e32 v1, v1, v3
	s_waitcnt lgkmcnt(2)
	v_add_f32_e32 v1, v1, v4
	v_add_f32_e32 v1, v1, v5
	ds_read2_b32 v[2:3], v10 offset0:9 offset1:10
	s_waitcnt lgkmcnt(2)
	v_add_f32_e32 v1, v1, v6
	v_add_f32_e32 v1, v1, v7
	s_waitcnt lgkmcnt(1)
	v_add_f32_e32 v1, v1, v8
	v_add_f32_e32 v1, v1, v9
	ds_read2_b32 v[4:5], v10 offset0:11 offset1:12
	ds_read2_b32 v[6:7], v10 offset0:13 offset1:14
	ds_read_b32 v8, v10 offset:60
	s_waitcnt lgkmcnt(3)
	v_add_f32_e32 v1, v1, v2
	v_add_f32_e32 v1, v1, v3
	s_waitcnt lgkmcnt(2)
	v_add_f32_e32 v1, v1, v4
	v_add_f32_e32 v1, v1, v5
	;; [unrolled: 3-line block ×3, first 2 shown]
	s_waitcnt lgkmcnt(0)
	v_add_f32_e32 v1, v1, v8
	ds_write_b32 v10, v1
.LBB3_15:
	s_or_b64 exec, exec, s[4:5]
	s_waitcnt lgkmcnt(0)
	s_barrier
	s_and_saveexec_b64 s[0:1], vcc
	s_cbranch_execz .LBB3_18
; %bb.16:
	s_mul_i32 s0, s8, s17
	s_mul_hi_u32 s1, s8, s16
	s_add_i32 s0, s1, s0
	s_mul_i32 s1, s38, s16
	s_add_i32 s1, s0, s1
	s_mul_i32 s0, s8, s16
	s_lshl_b64 s[0:1], s[0:1], 2
	s_add_u32 s0, s14, s0
	s_addc_u32 s1, s15, s1
	v_mov_b32_e32 v1, 0
	s_load_dword s0, s[0:1], 0x0
	ds_read_b32 v1, v1
	v_lshlrev_b32_e32 v2, 2, v0
	v_add3_u32 v4, v2, 0, 64
	v_mad_i64_i32 v[2:3], s[4:5], s2, v0, 0
	s_waitcnt lgkmcnt(0)
	v_mul_f32_e64 v1, v1, -s0
	s_add_i32 s0, s36, s33
	s_add_i32 s25, s0, s37
	s_ashr_i32 s3, s2, 31
	s_lshl_b64 s[0:1], s[24:25], 2
	s_lshl_b64 s[4:5], s[10:11], 2
	;; [unrolled: 1-line block ×3, first 2 shown]
	s_add_u32 s6, s18, s6
	s_addc_u32 s7, s19, s7
	s_add_u32 s4, s6, s4
	s_addc_u32 s5, s7, s5
	s_add_u32 s0, s4, s0
	v_lshlrev_b64 v[2:3], 2, v[2:3]
	s_addc_u32 s1, s5, s1
	v_mov_b32_e32 v5, s1
	v_add_co_u32_e32 v2, vcc, s0, v2
	s_lshl_b64 s[0:1], s[2:3], 12
	v_addc_co_u32_e32 v3, vcc, v5, v3, vcc
	s_mov_b64 s[2:3], 0
	v_mov_b32_e32 v5, s1
.LBB3_17:                               ; =>This Inner Loop Header: Depth=1
	global_load_dword v6, v[2:3], off
	ds_read_b32 v7, v4
	v_add_u32_e32 v0, 0x400, v0
	v_cmp_le_i32_e32 vcc, s9, v0
	s_or_b64 s[2:3], vcc, s[2:3]
	v_add_u32_e32 v4, 0x1000, v4
	s_waitcnt vmcnt(0) lgkmcnt(0)
	v_fmac_f32_e32 v6, v1, v7
	global_store_dword v[2:3], v6, off
	v_add_co_u32_e32 v2, vcc, s0, v2
	v_addc_co_u32_e32 v3, vcc, v3, v5, vcc
	s_andn2_b64 exec, exec, s[2:3]
	s_cbranch_execnz .LBB3_17
.LBB3_18:
	s_endpgm
	.section	.rodata,"a",@progbits
	.p2align	6, 0x0
	.amdhsa_kernel _ZN9rocsolver6v33100L17larf_right_kernelILi1024EfiPfEEvT1_S3_T2_lS3_lPKT0_lS4_lS3_l
		.amdhsa_group_segment_fixed_size 0
		.amdhsa_private_segment_fixed_size 0
		.amdhsa_kernarg_size 88
		.amdhsa_user_sgpr_count 6
		.amdhsa_user_sgpr_private_segment_buffer 1
		.amdhsa_user_sgpr_dispatch_ptr 0
		.amdhsa_user_sgpr_queue_ptr 0
		.amdhsa_user_sgpr_kernarg_segment_ptr 1
		.amdhsa_user_sgpr_dispatch_id 0
		.amdhsa_user_sgpr_flat_scratch_init 0
		.amdhsa_user_sgpr_kernarg_preload_length 0
		.amdhsa_user_sgpr_kernarg_preload_offset 0
		.amdhsa_user_sgpr_private_segment_size 0
		.amdhsa_uses_dynamic_stack 0
		.amdhsa_system_sgpr_private_segment_wavefront_offset 0
		.amdhsa_system_sgpr_workgroup_id_x 1
		.amdhsa_system_sgpr_workgroup_id_y 1
		.amdhsa_system_sgpr_workgroup_id_z 1
		.amdhsa_system_sgpr_workgroup_info 0
		.amdhsa_system_vgpr_workitem_id 0
		.amdhsa_next_free_vgpr 18
		.amdhsa_next_free_sgpr 40
		.amdhsa_accum_offset 20
		.amdhsa_reserve_vcc 1
		.amdhsa_reserve_flat_scratch 0
		.amdhsa_float_round_mode_32 0
		.amdhsa_float_round_mode_16_64 0
		.amdhsa_float_denorm_mode_32 3
		.amdhsa_float_denorm_mode_16_64 3
		.amdhsa_dx10_clamp 1
		.amdhsa_ieee_mode 1
		.amdhsa_fp16_overflow 0
		.amdhsa_tg_split 0
		.amdhsa_exception_fp_ieee_invalid_op 0
		.amdhsa_exception_fp_denorm_src 0
		.amdhsa_exception_fp_ieee_div_zero 0
		.amdhsa_exception_fp_ieee_overflow 0
		.amdhsa_exception_fp_ieee_underflow 0
		.amdhsa_exception_fp_ieee_inexact 0
		.amdhsa_exception_int_div_zero 0
	.end_amdhsa_kernel
	.section	.text._ZN9rocsolver6v33100L17larf_right_kernelILi1024EfiPfEEvT1_S3_T2_lS3_lPKT0_lS4_lS3_l,"axG",@progbits,_ZN9rocsolver6v33100L17larf_right_kernelILi1024EfiPfEEvT1_S3_T2_lS3_lPKT0_lS4_lS3_l,comdat
.Lfunc_end3:
	.size	_ZN9rocsolver6v33100L17larf_right_kernelILi1024EfiPfEEvT1_S3_T2_lS3_lPKT0_lS4_lS3_l, .Lfunc_end3-_ZN9rocsolver6v33100L17larf_right_kernelILi1024EfiPfEEvT1_S3_T2_lS3_lPKT0_lS4_lS3_l
                                        ; -- End function
	.section	.AMDGPU.csdata,"",@progbits
; Kernel info:
; codeLenInByte = 1672
; NumSgprs: 44
; NumVgprs: 18
; NumAgprs: 0
; TotalNumVgprs: 18
; ScratchSize: 0
; MemoryBound: 0
; FloatMode: 240
; IeeeMode: 1
; LDSByteSize: 0 bytes/workgroup (compile time only)
; SGPRBlocks: 5
; VGPRBlocks: 2
; NumSGPRsForWavesPerEU: 44
; NumVGPRsForWavesPerEU: 18
; AccumOffset: 20
; Occupancy: 8
; WaveLimiterHint : 0
; COMPUTE_PGM_RSRC2:SCRATCH_EN: 0
; COMPUTE_PGM_RSRC2:USER_SGPR: 6
; COMPUTE_PGM_RSRC2:TRAP_HANDLER: 0
; COMPUTE_PGM_RSRC2:TGID_X_EN: 1
; COMPUTE_PGM_RSRC2:TGID_Y_EN: 1
; COMPUTE_PGM_RSRC2:TGID_Z_EN: 1
; COMPUTE_PGM_RSRC2:TIDIG_COMP_CNT: 0
; COMPUTE_PGM_RSRC3_GFX90A:ACCUM_OFFSET: 4
; COMPUTE_PGM_RSRC3_GFX90A:TG_SPLIT: 0
	.section	.text._ZN9rocsolver6v33100L12subtract_tauIfPfEEviiT0_iilPT_l,"axG",@progbits,_ZN9rocsolver6v33100L12subtract_tauIfPfEEviiT0_iilPT_l,comdat
	.globl	_ZN9rocsolver6v33100L12subtract_tauIfPfEEviiT0_iilPT_l ; -- Begin function _ZN9rocsolver6v33100L12subtract_tauIfPfEEviiT0_iilPT_l
	.p2align	8
	.type	_ZN9rocsolver6v33100L12subtract_tauIfPfEEviiT0_iilPT_l,@function
_ZN9rocsolver6v33100L12subtract_tauIfPfEEviiT0_iilPT_l: ; @_ZN9rocsolver6v33100L12subtract_tauIfPfEEviiT0_iilPT_l
; %bb.0:
	s_load_dwordx2 s[12:13], s[4:5], 0x10
	s_load_dwordx4 s[0:3], s[4:5], 0x18
	s_load_dwordx4 s[8:11], s[4:5], 0x0
	s_load_dwordx2 s[14:15], s[4:5], 0x28
	v_mov_b32_e32 v0, 0
	s_waitcnt lgkmcnt(0)
	s_ashr_i32 s5, s12, 31
	s_mul_i32 s1, s6, s1
	s_mul_hi_u32 s7, s6, s0
	s_add_i32 s1, s7, s1
	s_mul_i32 s0, s6, s0
	s_lshl_b64 s[0:1], s[0:1], 2
	s_mov_b32 s4, s12
	s_add_u32 s7, s10, s0
	s_addc_u32 s10, s11, s1
	s_lshl_b64 s[0:1], s[4:5], 2
	s_add_u32 s4, s7, s0
	s_addc_u32 s5, s10, s1
	s_mul_i32 s0, s6, s15
	s_mul_hi_u32 s1, s6, s14
	s_add_i32 s1, s1, s0
	s_mul_i32 s0, s6, s14
	s_lshl_b64 s[0:1], s[0:1], 2
	s_add_u32 s0, s2, s0
	s_addc_u32 s1, s3, s1
	s_load_dword s2, s[0:1], 0x0
	s_waitcnt lgkmcnt(0)
	s_xor_b32 s3, s2, 0x80000000
	v_mov_b32_e32 v1, s3
	global_store_dword v0, v1, s[0:1]
	s_mul_i32 s0, s13, s9
	s_add_i32 s0, s0, s8
	s_ashr_i32 s1, s0, 31
	s_lshl_b64 s[0:1], s[0:1], 2
	s_add_u32 s0, s4, s0
	v_sub_f32_e64 v1, 1.0, s2
	s_addc_u32 s1, s5, s1
	global_store_dword v0, v1, s[0:1]
	s_endpgm
	.section	.rodata,"a",@progbits
	.p2align	6, 0x0
	.amdhsa_kernel _ZN9rocsolver6v33100L12subtract_tauIfPfEEviiT0_iilPT_l
		.amdhsa_group_segment_fixed_size 0
		.amdhsa_private_segment_fixed_size 0
		.amdhsa_kernarg_size 48
		.amdhsa_user_sgpr_count 6
		.amdhsa_user_sgpr_private_segment_buffer 1
		.amdhsa_user_sgpr_dispatch_ptr 0
		.amdhsa_user_sgpr_queue_ptr 0
		.amdhsa_user_sgpr_kernarg_segment_ptr 1
		.amdhsa_user_sgpr_dispatch_id 0
		.amdhsa_user_sgpr_flat_scratch_init 0
		.amdhsa_user_sgpr_kernarg_preload_length 0
		.amdhsa_user_sgpr_kernarg_preload_offset 0
		.amdhsa_user_sgpr_private_segment_size 0
		.amdhsa_uses_dynamic_stack 0
		.amdhsa_system_sgpr_private_segment_wavefront_offset 0
		.amdhsa_system_sgpr_workgroup_id_x 1
		.amdhsa_system_sgpr_workgroup_id_y 0
		.amdhsa_system_sgpr_workgroup_id_z 0
		.amdhsa_system_sgpr_workgroup_info 0
		.amdhsa_system_vgpr_workitem_id 0
		.amdhsa_next_free_vgpr 2
		.amdhsa_next_free_sgpr 16
		.amdhsa_accum_offset 4
		.amdhsa_reserve_vcc 0
		.amdhsa_reserve_flat_scratch 0
		.amdhsa_float_round_mode_32 0
		.amdhsa_float_round_mode_16_64 0
		.amdhsa_float_denorm_mode_32 3
		.amdhsa_float_denorm_mode_16_64 3
		.amdhsa_dx10_clamp 1
		.amdhsa_ieee_mode 1
		.amdhsa_fp16_overflow 0
		.amdhsa_tg_split 0
		.amdhsa_exception_fp_ieee_invalid_op 0
		.amdhsa_exception_fp_denorm_src 0
		.amdhsa_exception_fp_ieee_div_zero 0
		.amdhsa_exception_fp_ieee_overflow 0
		.amdhsa_exception_fp_ieee_underflow 0
		.amdhsa_exception_fp_ieee_inexact 0
		.amdhsa_exception_int_div_zero 0
	.end_amdhsa_kernel
	.section	.text._ZN9rocsolver6v33100L12subtract_tauIfPfEEviiT0_iilPT_l,"axG",@progbits,_ZN9rocsolver6v33100L12subtract_tauIfPfEEviiT0_iilPT_l,comdat
.Lfunc_end4:
	.size	_ZN9rocsolver6v33100L12subtract_tauIfPfEEviiT0_iilPT_l, .Lfunc_end4-_ZN9rocsolver6v33100L12subtract_tauIfPfEEviiT0_iilPT_l
                                        ; -- End function
	.section	.AMDGPU.csdata,"",@progbits
; Kernel info:
; codeLenInByte = 192
; NumSgprs: 20
; NumVgprs: 2
; NumAgprs: 0
; TotalNumVgprs: 2
; ScratchSize: 0
; MemoryBound: 0
; FloatMode: 240
; IeeeMode: 1
; LDSByteSize: 0 bytes/workgroup (compile time only)
; SGPRBlocks: 2
; VGPRBlocks: 0
; NumSGPRsForWavesPerEU: 20
; NumVGPRsForWavesPerEU: 2
; AccumOffset: 4
; Occupancy: 8
; WaveLimiterHint : 0
; COMPUTE_PGM_RSRC2:SCRATCH_EN: 0
; COMPUTE_PGM_RSRC2:USER_SGPR: 6
; COMPUTE_PGM_RSRC2:TRAP_HANDLER: 0
; COMPUTE_PGM_RSRC2:TGID_X_EN: 1
; COMPUTE_PGM_RSRC2:TGID_Y_EN: 0
; COMPUTE_PGM_RSRC2:TGID_Z_EN: 0
; COMPUTE_PGM_RSRC2:TIDIG_COMP_CNT: 0
; COMPUTE_PGM_RSRC3_GFX90A:ACCUM_OFFSET: 0
; COMPUTE_PGM_RSRC3_GFX90A:TG_SPLIT: 0
	.section	.text._ZN9rocsolver6v33100L6restauIfEEviPT_l,"axG",@progbits,_ZN9rocsolver6v33100L6restauIfEEviPT_l,comdat
	.globl	_ZN9rocsolver6v33100L6restauIfEEviPT_l ; -- Begin function _ZN9rocsolver6v33100L6restauIfEEviPT_l
	.p2align	8
	.type	_ZN9rocsolver6v33100L6restauIfEEviPT_l,@function
_ZN9rocsolver6v33100L6restauIfEEviPT_l: ; @_ZN9rocsolver6v33100L6restauIfEEviPT_l
; %bb.0:
	s_load_dword s0, s[4:5], 0x24
	s_load_dword s1, s[4:5], 0x0
	s_waitcnt lgkmcnt(0)
	s_and_b32 s0, s0, 0xffff
	s_mul_i32 s6, s6, s0
	v_add_u32_e32 v0, s6, v0
	v_cmp_gt_u32_e32 vcc, s1, v0
	s_and_saveexec_b64 s[0:1], vcc
	s_cbranch_execz .LBB5_2
; %bb.1:
	s_load_dwordx4 s[0:3], s[4:5], 0x8
	v_mov_b32_e32 v1, 0
	v_lshlrev_b64 v[0:1], 2, v[0:1]
	s_waitcnt lgkmcnt(0)
	s_mul_i32 s3, s7, s3
	s_mul_hi_u32 s4, s7, s2
	s_mul_i32 s2, s7, s2
	s_add_i32 s3, s4, s3
	s_lshl_b64 s[2:3], s[2:3], 2
	s_add_u32 s0, s0, s2
	s_addc_u32 s1, s1, s3
	v_mov_b32_e32 v2, s1
	v_add_co_u32_e32 v0, vcc, s0, v0
	v_addc_co_u32_e32 v1, vcc, v2, v1, vcc
	global_load_dword v2, v[0:1], off
	s_waitcnt vmcnt(0)
	v_xor_b32_e32 v2, 0x80000000, v2
	global_store_dword v[0:1], v2, off
.LBB5_2:
	s_endpgm
	.section	.rodata,"a",@progbits
	.p2align	6, 0x0
	.amdhsa_kernel _ZN9rocsolver6v33100L6restauIfEEviPT_l
		.amdhsa_group_segment_fixed_size 0
		.amdhsa_private_segment_fixed_size 0
		.amdhsa_kernarg_size 280
		.amdhsa_user_sgpr_count 6
		.amdhsa_user_sgpr_private_segment_buffer 1
		.amdhsa_user_sgpr_dispatch_ptr 0
		.amdhsa_user_sgpr_queue_ptr 0
		.amdhsa_user_sgpr_kernarg_segment_ptr 1
		.amdhsa_user_sgpr_dispatch_id 0
		.amdhsa_user_sgpr_flat_scratch_init 0
		.amdhsa_user_sgpr_kernarg_preload_length 0
		.amdhsa_user_sgpr_kernarg_preload_offset 0
		.amdhsa_user_sgpr_private_segment_size 0
		.amdhsa_uses_dynamic_stack 0
		.amdhsa_system_sgpr_private_segment_wavefront_offset 0
		.amdhsa_system_sgpr_workgroup_id_x 1
		.amdhsa_system_sgpr_workgroup_id_y 1
		.amdhsa_system_sgpr_workgroup_id_z 0
		.amdhsa_system_sgpr_workgroup_info 0
		.amdhsa_system_vgpr_workitem_id 0
		.amdhsa_next_free_vgpr 3
		.amdhsa_next_free_sgpr 8
		.amdhsa_accum_offset 4
		.amdhsa_reserve_vcc 1
		.amdhsa_reserve_flat_scratch 0
		.amdhsa_float_round_mode_32 0
		.amdhsa_float_round_mode_16_64 0
		.amdhsa_float_denorm_mode_32 3
		.amdhsa_float_denorm_mode_16_64 3
		.amdhsa_dx10_clamp 1
		.amdhsa_ieee_mode 1
		.amdhsa_fp16_overflow 0
		.amdhsa_tg_split 0
		.amdhsa_exception_fp_ieee_invalid_op 0
		.amdhsa_exception_fp_denorm_src 0
		.amdhsa_exception_fp_ieee_div_zero 0
		.amdhsa_exception_fp_ieee_overflow 0
		.amdhsa_exception_fp_ieee_underflow 0
		.amdhsa_exception_fp_ieee_inexact 0
		.amdhsa_exception_int_div_zero 0
	.end_amdhsa_kernel
	.section	.text._ZN9rocsolver6v33100L6restauIfEEviPT_l,"axG",@progbits,_ZN9rocsolver6v33100L6restauIfEEviPT_l,comdat
.Lfunc_end5:
	.size	_ZN9rocsolver6v33100L6restauIfEEviPT_l, .Lfunc_end5-_ZN9rocsolver6v33100L6restauIfEEviPT_l
                                        ; -- End function
	.section	.AMDGPU.csdata,"",@progbits
; Kernel info:
; codeLenInByte = 144
; NumSgprs: 12
; NumVgprs: 3
; NumAgprs: 0
; TotalNumVgprs: 3
; ScratchSize: 0
; MemoryBound: 0
; FloatMode: 240
; IeeeMode: 1
; LDSByteSize: 0 bytes/workgroup (compile time only)
; SGPRBlocks: 1
; VGPRBlocks: 0
; NumSGPRsForWavesPerEU: 12
; NumVGPRsForWavesPerEU: 3
; AccumOffset: 4
; Occupancy: 8
; WaveLimiterHint : 0
; COMPUTE_PGM_RSRC2:SCRATCH_EN: 0
; COMPUTE_PGM_RSRC2:USER_SGPR: 6
; COMPUTE_PGM_RSRC2:TRAP_HANDLER: 0
; COMPUTE_PGM_RSRC2:TGID_X_EN: 1
; COMPUTE_PGM_RSRC2:TGID_Y_EN: 1
; COMPUTE_PGM_RSRC2:TGID_Z_EN: 0
; COMPUTE_PGM_RSRC2:TIDIG_COMP_CNT: 0
; COMPUTE_PGM_RSRC3_GFX90A:ACCUM_OFFSET: 0
; COMPUTE_PGM_RSRC3_GFX90A:TG_SPLIT: 0
	.section	.text._ZN9rocsolver6v33100L8set_zeroIfPfEEviiT0_iil13rocblas_fill_,"axG",@progbits,_ZN9rocsolver6v33100L8set_zeroIfPfEEviiT0_iil13rocblas_fill_,comdat
	.globl	_ZN9rocsolver6v33100L8set_zeroIfPfEEviiT0_iil13rocblas_fill_ ; -- Begin function _ZN9rocsolver6v33100L8set_zeroIfPfEEviiT0_iil13rocblas_fill_
	.p2align	8
	.type	_ZN9rocsolver6v33100L8set_zeroIfPfEEviiT0_iil13rocblas_fill_,@function
_ZN9rocsolver6v33100L8set_zeroIfPfEEviiT0_iil13rocblas_fill_: ; @_ZN9rocsolver6v33100L8set_zeroIfPfEEviiT0_iil13rocblas_fill_
; %bb.0:
	s_load_dword s2, s[4:5], 0x34
	s_load_dwordx2 s[0:1], s[4:5], 0x0
	v_and_b32_e32 v1, 0x3ff, v0
	v_bfe_u32 v0, v0, 10, 10
	s_waitcnt lgkmcnt(0)
	s_lshr_b32 s3, s2, 16
	s_and_b32 s2, s2, 0xffff
	s_mul_i32 s6, s6, s2
	s_mul_i32 s7, s7, s3
	v_add_u32_e32 v2, s6, v1
	v_add_u32_e32 v0, s7, v0
	v_cmp_gt_u32_e32 vcc, s0, v2
	v_cmp_gt_u32_e64 s[0:1], s1, v0
	s_and_b64 s[0:1], vcc, s[0:1]
	s_and_saveexec_b64 s[2:3], s[0:1]
	s_cbranch_execz .LBB6_12
; %bb.1:
	s_load_dword s6, s[4:5], 0x20
	s_waitcnt lgkmcnt(0)
	s_cmpk_lt_i32 s6, 0x7a
	s_cbranch_scc1 .LBB6_4
; %bb.2:
	s_cmpk_gt_i32 s6, 0x7a
	s_cbranch_scc0 .LBB6_5
; %bb.3:
	s_cmpk_eq_i32 s6, 0x7b
	s_cselect_b64 s[0:1], -1, 0
	s_cbranch_execz .LBB6_6
	s_branch .LBB6_7
.LBB6_4:
	s_mov_b64 s[0:1], 0
	s_cbranch_execnz .LBB6_8
	s_branch .LBB6_10
.LBB6_5:
	s_mov_b64 s[0:1], 0
.LBB6_6:
	v_cmp_gt_u32_e32 vcc, v0, v2
	s_andn2_b64 s[0:1], s[0:1], exec
	s_and_b64 s[2:3], vcc, exec
	s_or_b64 s[0:1], s[0:1], s[2:3]
.LBB6_7:
	s_branch .LBB6_10
.LBB6_8:
	s_cmpk_eq_i32 s6, 0x79
	s_cbranch_scc0 .LBB6_10
; %bb.9:
	v_cmp_gt_u32_e32 vcc, v2, v0
	s_andn2_b64 s[0:1], s[0:1], exec
	s_and_b64 s[2:3], vcc, exec
	s_or_b64 s[0:1], s[0:1], s[2:3]
.LBB6_10:
	s_and_b64 exec, exec, s[0:1]
	s_cbranch_execz .LBB6_12
; %bb.11:
	s_load_dwordx4 s[0:3], s[4:5], 0x8
	s_load_dwordx2 s[6:7], s[4:5], 0x18
	s_waitcnt lgkmcnt(0)
	s_ashr_i32 s5, s2, 31
	s_mov_b32 s4, s2
	s_mul_i32 s2, s8, s7
	s_mul_hi_u32 s7, s8, s6
	s_add_i32 s7, s7, s2
	s_mul_i32 s6, s8, s6
	s_lshl_b64 s[6:7], s[6:7], 2
	s_add_u32 s2, s0, s6
	s_addc_u32 s6, s1, s7
	s_lshl_b64 s[0:1], s[4:5], 2
	s_add_u32 s2, s2, s0
	s_addc_u32 s4, s6, s1
	v_mad_u64_u32 v[0:1], s[0:1], v0, s3, v[2:3]
	v_mov_b32_e32 v1, 0
	v_lshlrev_b64 v[2:3], 2, v[0:1]
	v_mov_b32_e32 v0, s4
	v_add_co_u32_e32 v2, vcc, s2, v2
	v_addc_co_u32_e32 v3, vcc, v0, v3, vcc
	global_store_dword v[2:3], v1, off
.LBB6_12:
	s_endpgm
	.section	.rodata,"a",@progbits
	.p2align	6, 0x0
	.amdhsa_kernel _ZN9rocsolver6v33100L8set_zeroIfPfEEviiT0_iil13rocblas_fill_
		.amdhsa_group_segment_fixed_size 0
		.amdhsa_private_segment_fixed_size 0
		.amdhsa_kernarg_size 296
		.amdhsa_user_sgpr_count 6
		.amdhsa_user_sgpr_private_segment_buffer 1
		.amdhsa_user_sgpr_dispatch_ptr 0
		.amdhsa_user_sgpr_queue_ptr 0
		.amdhsa_user_sgpr_kernarg_segment_ptr 1
		.amdhsa_user_sgpr_dispatch_id 0
		.amdhsa_user_sgpr_flat_scratch_init 0
		.amdhsa_user_sgpr_kernarg_preload_length 0
		.amdhsa_user_sgpr_kernarg_preload_offset 0
		.amdhsa_user_sgpr_private_segment_size 0
		.amdhsa_uses_dynamic_stack 0
		.amdhsa_system_sgpr_private_segment_wavefront_offset 0
		.amdhsa_system_sgpr_workgroup_id_x 1
		.amdhsa_system_sgpr_workgroup_id_y 1
		.amdhsa_system_sgpr_workgroup_id_z 1
		.amdhsa_system_sgpr_workgroup_info 0
		.amdhsa_system_vgpr_workitem_id 1
		.amdhsa_next_free_vgpr 4
		.amdhsa_next_free_sgpr 9
		.amdhsa_accum_offset 4
		.amdhsa_reserve_vcc 1
		.amdhsa_reserve_flat_scratch 0
		.amdhsa_float_round_mode_32 0
		.amdhsa_float_round_mode_16_64 0
		.amdhsa_float_denorm_mode_32 3
		.amdhsa_float_denorm_mode_16_64 3
		.amdhsa_dx10_clamp 1
		.amdhsa_ieee_mode 1
		.amdhsa_fp16_overflow 0
		.amdhsa_tg_split 0
		.amdhsa_exception_fp_ieee_invalid_op 0
		.amdhsa_exception_fp_denorm_src 0
		.amdhsa_exception_fp_ieee_div_zero 0
		.amdhsa_exception_fp_ieee_overflow 0
		.amdhsa_exception_fp_ieee_underflow 0
		.amdhsa_exception_fp_ieee_inexact 0
		.amdhsa_exception_int_div_zero 0
	.end_amdhsa_kernel
	.section	.text._ZN9rocsolver6v33100L8set_zeroIfPfEEviiT0_iil13rocblas_fill_,"axG",@progbits,_ZN9rocsolver6v33100L8set_zeroIfPfEEviiT0_iil13rocblas_fill_,comdat
.Lfunc_end6:
	.size	_ZN9rocsolver6v33100L8set_zeroIfPfEEviiT0_iil13rocblas_fill_, .Lfunc_end6-_ZN9rocsolver6v33100L8set_zeroIfPfEEviiT0_iil13rocblas_fill_
                                        ; -- End function
	.section	.AMDGPU.csdata,"",@progbits
; Kernel info:
; codeLenInByte = 312
; NumSgprs: 13
; NumVgprs: 4
; NumAgprs: 0
; TotalNumVgprs: 4
; ScratchSize: 0
; MemoryBound: 0
; FloatMode: 240
; IeeeMode: 1
; LDSByteSize: 0 bytes/workgroup (compile time only)
; SGPRBlocks: 1
; VGPRBlocks: 0
; NumSGPRsForWavesPerEU: 13
; NumVGPRsForWavesPerEU: 4
; AccumOffset: 4
; Occupancy: 8
; WaveLimiterHint : 0
; COMPUTE_PGM_RSRC2:SCRATCH_EN: 0
; COMPUTE_PGM_RSRC2:USER_SGPR: 6
; COMPUTE_PGM_RSRC2:TRAP_HANDLER: 0
; COMPUTE_PGM_RSRC2:TGID_X_EN: 1
; COMPUTE_PGM_RSRC2:TGID_Y_EN: 1
; COMPUTE_PGM_RSRC2:TGID_Z_EN: 1
; COMPUTE_PGM_RSRC2:TIDIG_COMP_CNT: 1
; COMPUTE_PGM_RSRC3_GFX90A:ACCUM_OFFSET: 0
; COMPUTE_PGM_RSRC3_GFX90A:TG_SPLIT: 0
	.section	.text._ZN9rocsolver6v33100L14set_triangularIfPfTnNSt9enable_ifIXnt18rocblas_is_complexIT_EEiE4typeELi0EEEviiT0_iilPS4_lS8_il15rocblas_direct_15rocblas_storev_b,"axG",@progbits,_ZN9rocsolver6v33100L14set_triangularIfPfTnNSt9enable_ifIXnt18rocblas_is_complexIT_EEiE4typeELi0EEEviiT0_iilPS4_lS8_il15rocblas_direct_15rocblas_storev_b,comdat
	.globl	_ZN9rocsolver6v33100L14set_triangularIfPfTnNSt9enable_ifIXnt18rocblas_is_complexIT_EEiE4typeELi0EEEviiT0_iilPS4_lS8_il15rocblas_direct_15rocblas_storev_b ; -- Begin function _ZN9rocsolver6v33100L14set_triangularIfPfTnNSt9enable_ifIXnt18rocblas_is_complexIT_EEiE4typeELi0EEEviiT0_iilPS4_lS8_il15rocblas_direct_15rocblas_storev_b
	.p2align	8
	.type	_ZN9rocsolver6v33100L14set_triangularIfPfTnNSt9enable_ifIXnt18rocblas_is_complexIT_EEiE4typeELi0EEEviiT0_iilPS4_lS8_il15rocblas_direct_15rocblas_storev_b,@function
_ZN9rocsolver6v33100L14set_triangularIfPfTnNSt9enable_ifIXnt18rocblas_is_complexIT_EEiE4typeELi0EEEviiT0_iilPS4_lS8_il15rocblas_direct_15rocblas_storev_b: ; @_ZN9rocsolver6v33100L14set_triangularIfPfTnNSt9enable_ifIXnt18rocblas_is_complexIT_EEiE4typeELi0EEEviiT0_iilPS4_lS8_il15rocblas_direct_15rocblas_storev_b
; %bb.0:
	s_load_dword s0, s[4:5], 0x64
	s_load_dwordx2 s[20:21], s[4:5], 0x0
	v_and_b32_e32 v1, 0x3ff, v0
	v_bfe_u32 v0, v0, 10, 10
	s_waitcnt lgkmcnt(0)
	s_lshr_b32 s1, s0, 16
	s_and_b32 s0, s0, 0xffff
	s_mul_i32 s6, s6, s0
	s_mul_i32 s7, s7, s1
	v_add_u32_e32 v2, s6, v1
	v_add_u32_e32 v0, s7, v0
	v_max_u32_e32 v1, v2, v0
	v_cmp_gt_u32_e32 vcc, s21, v1
	s_and_saveexec_b64 s[0:1], vcc
	s_cbranch_execz .LBB7_36
; %bb.1:
	s_load_dwordx8 s[12:19], s[4:5], 0x18
	s_load_dword s22, s[4:5], 0x38
	s_load_dwordx2 s[0:1], s[4:5], 0x40
	v_cmp_ne_u32_e32 vcc, v0, v2
	s_waitcnt lgkmcnt(0)
	s_mul_i32 s3, s8, s17
	s_mul_hi_u32 s6, s8, s16
	s_mul_i32 s2, s8, s16
	s_add_i32 s3, s6, s3
	s_lshl_b64 s[2:3], s[2:3], 2
	s_add_u32 s16, s14, s2
	s_mul_i32 s1, s8, s1
	s_mul_hi_u32 s2, s8, s0
	s_addc_u32 s17, s15, s3
	s_add_i32 s1, s2, s1
	s_mul_i32 s0, s8, s0
	s_lshl_b64 s[0:1], s[0:1], 2
	s_add_u32 s14, s18, s0
	s_addc_u32 s15, s19, s1
	s_and_saveexec_b64 s[0:1], vcc
	s_xor_b64 s[10:11], exec, s[0:1]
	s_cbranch_execz .LBB7_34
; %bb.2:
	s_load_dwordx4 s[0:3], s[4:5], 0x8
	s_mul_i32 s9, s8, s13
	s_mul_hi_u32 s13, s8, s12
	s_add_i32 s9, s13, s9
	s_mul_i32 s8, s8, s12
	s_load_dwordx4 s[4:7], s[4:5], 0x48
	s_waitcnt lgkmcnt(0)
	s_ashr_i32 s19, s2, 31
	s_lshl_b64 s[8:9], s[8:9], 2
	s_mov_b32 s18, s2
	s_add_u32 s2, s0, s8
	s_addc_u32 s7, s1, s9
	s_lshl_b64 s[0:1], s[18:19], 2
	s_add_u32 s2, s2, s0
	s_addc_u32 s12, s7, s1
	s_bitcmp1_b32 s6, 0
	s_cselect_b64 s[0:1], -1, 0
	s_xor_b64 s[0:1], s[0:1], -1
	s_mov_b64 s[6:7], -1
	s_cmpk_lg_i32 s4, 0xab
	v_mov_b32_e32 v3, 0
	s_cbranch_scc0 .LBB7_18
; %bb.3:
	v_cmp_le_u32_e32 vcc, v0, v2
	s_and_saveexec_b64 s[6:7], vcc
	s_xor_b64 s[6:7], exec, s[6:7]
	s_cbranch_execz .LBB7_5
; %bb.4:
	v_mad_u64_u32 v[4:5], s[8:9], v2, s22, 0
	s_ashr_i32 s4, s22, 31
	v_mov_b32_e32 v6, v5
	v_mad_u64_u32 v[6:7], s[8:9], v2, s4, v[6:7]
	v_mov_b32_e32 v5, v6
	v_lshlrev_b64 v[4:5], 2, v[4:5]
	v_mov_b32_e32 v1, 0
	v_mov_b32_e32 v6, s15
	v_add_co_u32_e32 v7, vcc, s14, v4
	v_addc_co_u32_e32 v6, vcc, v6, v5, vcc
	v_lshlrev_b64 v[4:5], 2, v[0:1]
	v_add_co_u32_e32 v4, vcc, v7, v4
	v_addc_co_u32_e32 v5, vcc, v6, v5, vcc
	global_store_dword v[4:5], v1, off
.LBB7_5:
	s_andn2_saveexec_b64 s[6:7], s[6:7]
	s_cbranch_execz .LBB7_17
; %bb.6:
	v_lshlrev_b64 v[4:5], 2, v[2:3]
	v_mov_b32_e32 v1, s17
	v_add_co_u32_e32 v4, vcc, s16, v4
	v_addc_co_u32_e32 v5, vcc, v1, v5, vcc
	global_load_dword v6, v[4:5], off
	s_cmpk_lg_i32 s5, 0xb5
	s_mov_b64 s[8:9], -1
	s_cbranch_scc0 .LBB7_12
; %bb.7:
	v_mov_b32_e32 v1, 0
	s_andn2_b64 vcc, exec, s[0:1]
	v_lshlrev_b64 v[4:5], 2, v[0:1]
	s_cbranch_vccnz .LBB7_9
; %bb.8:
	s_sub_i32 s4, s20, s21
	v_add_u32_e32 v1, s4, v2
	v_mad_u64_u32 v[8:9], s[8:9], v1, s3, 0
	s_ashr_i32 s4, s3, 31
	v_mov_b32_e32 v10, v9
	v_mad_u64_u32 v[10:11], s[8:9], v1, s4, v[10:11]
	v_mov_b32_e32 v9, v10
	v_lshlrev_b64 v[8:9], 2, v[8:9]
	v_mov_b32_e32 v1, s12
	v_add_co_u32_e32 v7, vcc, s2, v8
	v_addc_co_u32_e32 v1, vcc, v1, v9, vcc
	v_add_co_u32_e32 v8, vcc, v7, v4
	v_addc_co_u32_e32 v9, vcc, v1, v5, vcc
	global_load_dword v1, v[8:9], off
	v_mad_u64_u32 v[8:9], s[8:9], v2, s22, 0
	s_ashr_i32 s4, s22, 31
	v_mov_b32_e32 v10, v9
	v_mad_u64_u32 v[10:11], s[8:9], v2, s4, v[10:11]
	v_mov_b32_e32 v9, v10
	v_lshlrev_b64 v[8:9], 2, v[8:9]
	v_mov_b32_e32 v7, s15
	v_add_co_u32_e32 v8, vcc, s14, v8
	v_addc_co_u32_e32 v7, vcc, v7, v9, vcc
	v_add_co_u32_e32 v8, vcc, v8, v4
	v_addc_co_u32_e32 v9, vcc, v7, v5, vcc
	s_mov_b64 s[8:9], 0
	s_waitcnt vmcnt(0)
	v_mul_f32_e64 v1, v1, -v6
	global_store_dword v[8:9], v1, off
.LBB7_9:
	s_andn2_b64 vcc, exec, s[8:9]
	s_cbranch_vccnz .LBB7_11
; %bb.10:
	v_mad_u64_u32 v[8:9], s[8:9], v2, s22, 0
	s_ashr_i32 s4, s22, 31
	v_mov_b32_e32 v10, v9
	v_mad_u64_u32 v[10:11], s[8:9], v2, s4, v[10:11]
	v_mov_b32_e32 v9, v10
	v_lshlrev_b64 v[8:9], 2, v[8:9]
	v_mov_b32_e32 v1, s15
	v_add_co_u32_e32 v7, vcc, s14, v8
	v_addc_co_u32_e32 v1, vcc, v1, v9, vcc
	s_sub_i32 s4, s20, s21
	v_add_co_u32_e32 v8, vcc, v7, v4
	v_add_u32_e32 v7, s4, v2
	v_mad_u64_u32 v[10:11], s[8:9], v7, s3, 0
	s_ashr_i32 s4, s3, 31
	v_mov_b32_e32 v12, v11
	v_mad_u64_u32 v[12:13], s[8:9], v7, s4, v[12:13]
	v_mov_b32_e32 v11, v12
	v_addc_co_u32_e32 v9, vcc, v1, v5, vcc
	v_lshlrev_b64 v[10:11], 2, v[10:11]
	v_mov_b32_e32 v7, s12
	v_add_co_u32_e32 v10, vcc, s2, v10
	v_addc_co_u32_e32 v7, vcc, v7, v11, vcc
	v_add_co_u32_e32 v4, vcc, v10, v4
	v_addc_co_u32_e32 v5, vcc, v7, v5, vcc
	global_load_dword v1, v[8:9], off
	s_nop 0
	global_load_dword v4, v[4:5], off
	s_waitcnt vmcnt(0)
	v_add_f32_e32 v1, v1, v4
	v_mul_f32_e64 v1, v1, -v6
	global_store_dword v[8:9], v1, off
.LBB7_11:
	s_mov_b64 s[8:9], 0
.LBB7_12:
	s_andn2_b64 vcc, exec, s[8:9]
	s_cbranch_vccnz .LBB7_17
; %bb.13:
	s_andn2_b64 vcc, exec, s[0:1]
	s_mov_b64 s[8:9], -1
	s_cbranch_vccnz .LBB7_15
; %bb.14:
	s_sub_i32 s4, s20, s21
	v_mad_u64_u32 v[8:9], s[8:9], v0, s3, 0
	v_add_u32_e32 v4, s4, v2
	s_ashr_i32 s4, s3, 31
	v_mov_b32_e32 v10, v9
	v_mad_u64_u32 v[10:11], s[8:9], v0, s4, v[10:11]
	v_mov_b32_e32 v9, v10
	v_lshlrev_b64 v[8:9], 2, v[8:9]
	v_mov_b32_e32 v5, 0
	v_mov_b32_e32 v1, s12
	v_add_co_u32_e32 v7, vcc, s2, v8
	v_addc_co_u32_e32 v1, vcc, v1, v9, vcc
	v_lshlrev_b64 v[8:9], 2, v[4:5]
	v_add_co_u32_e32 v8, vcc, v7, v8
	v_addc_co_u32_e32 v9, vcc, v1, v9, vcc
	global_load_dword v7, v[8:9], off
	v_mad_u64_u32 v[8:9], s[8:9], v2, s22, 0
	s_ashr_i32 s4, s22, 31
	v_mov_b32_e32 v4, v9
	v_mov_b32_e32 v1, v5
	v_mad_u64_u32 v[4:5], s[8:9], v2, s4, v[4:5]
	v_mov_b32_e32 v9, v4
	v_lshlrev_b64 v[4:5], 2, v[8:9]
	v_mov_b32_e32 v12, s15
	v_lshlrev_b64 v[10:11], 2, v[0:1]
	v_add_co_u32_e32 v1, vcc, s14, v4
	v_addc_co_u32_e32 v5, vcc, v12, v5, vcc
	v_add_co_u32_e32 v4, vcc, v1, v10
	v_addc_co_u32_e32 v5, vcc, v5, v11, vcc
	s_mov_b64 s[8:9], 0
	s_waitcnt vmcnt(0)
	v_mul_f32_e64 v1, v7, -v6
	global_store_dword v[4:5], v1, off
.LBB7_15:
	s_andn2_b64 vcc, exec, s[8:9]
	s_cbranch_vccnz .LBB7_17
; %bb.16:
	v_mad_u64_u32 v[4:5], s[8:9], v2, s22, 0
	s_ashr_i32 s4, s22, 31
	v_mov_b32_e32 v8, v5
	v_mad_u64_u32 v[8:9], s[8:9], v2, s4, v[8:9]
	v_mov_b32_e32 v5, v8
	v_lshlrev_b64 v[4:5], 2, v[4:5]
	v_mov_b32_e32 v1, 0
	v_mov_b32_e32 v7, s15
	v_add_co_u32_e32 v8, vcc, s14, v4
	v_addc_co_u32_e32 v7, vcc, v7, v5, vcc
	v_lshlrev_b64 v[4:5], 2, v[0:1]
	s_sub_i32 s4, s20, s21
	v_mad_u64_u32 v[10:11], s[8:9], v0, s3, 0
	v_add_co_u32_e32 v4, vcc, v8, v4
	v_add_u32_e32 v8, s4, v2
	s_ashr_i32 s4, s3, 31
	v_mov_b32_e32 v12, v11
	v_mad_u64_u32 v[12:13], s[8:9], v0, s4, v[12:13]
	v_mov_b32_e32 v11, v12
	v_addc_co_u32_e32 v5, vcc, v7, v5, vcc
	v_lshlrev_b64 v[10:11], 2, v[10:11]
	v_mov_b32_e32 v9, v1
	v_mov_b32_e32 v1, s12
	v_add_co_u32_e32 v10, vcc, s2, v10
	v_addc_co_u32_e32 v1, vcc, v1, v11, vcc
	v_lshlrev_b64 v[8:9], 2, v[8:9]
	v_add_co_u32_e32 v8, vcc, v10, v8
	v_addc_co_u32_e32 v9, vcc, v1, v9, vcc
	global_load_dword v7, v[4:5], off
	global_load_dword v1, v[8:9], off
	s_waitcnt vmcnt(0)
	v_add_f32_e32 v1, v7, v1
	v_mul_f32_e64 v1, v1, -v6
	global_store_dword v[4:5], v1, off
.LBB7_17:
	s_or_b64 exec, exec, s[6:7]
	s_mov_b64 s[6:7], 0
.LBB7_18:
	s_andn2_b64 vcc, exec, s[6:7]
	s_cbranch_vccnz .LBB7_34
; %bb.19:
	v_cmp_ge_u32_e32 vcc, v0, v2
	s_and_saveexec_b64 s[6:7], vcc
	s_xor_b64 s[6:7], exec, s[6:7]
	s_cbranch_execz .LBB7_21
; %bb.20:
	v_mad_u64_u32 v[4:5], s[8:9], v2, s22, 0
	s_ashr_i32 s4, s22, 31
	s_waitcnt vmcnt(0)
	v_mov_b32_e32 v6, v5
	v_mad_u64_u32 v[2:3], s[8:9], v2, s4, v[6:7]
	v_mov_b32_e32 v5, v2
	v_lshlrev_b64 v[2:3], 2, v[4:5]
	v_mov_b32_e32 v1, 0
	v_mov_b32_e32 v4, s15
	v_add_co_u32_e32 v5, vcc, s14, v2
	v_addc_co_u32_e32 v4, vcc, v4, v3, vcc
	v_lshlrev_b64 v[2:3], 2, v[0:1]
	v_add_co_u32_e32 v2, vcc, v5, v2
	v_addc_co_u32_e32 v3, vcc, v4, v3, vcc
	global_store_dword v[2:3], v1, off
                                        ; implicit-def: $vgpr2_vgpr3
                                        ; implicit-def: $vgpr0
.LBB7_21:
	s_andn2_saveexec_b64 s[6:7], s[6:7]
	s_cbranch_execz .LBB7_33
; %bb.22:
	v_lshlrev_b64 v[4:5], 2, v[2:3]
	v_mov_b32_e32 v1, s17
	s_waitcnt vmcnt(0)
	v_add_co_u32_e32 v6, vcc, s16, v4
	v_addc_co_u32_e32 v7, vcc, v1, v5, vcc
	global_load_dword v3, v[6:7], off
	v_cndmask_b32_e64 v6, 0, 1, s[0:1]
	s_cmpk_lg_i32 s5, 0xb5
	v_mov_b32_e32 v1, 0
	s_mov_b64 s[4:5], -1
	v_cmp_ne_u32_e64 s[0:1], 1, v6
	s_cbranch_scc0 .LBB7_28
; %bb.23:
	s_and_b64 vcc, exec, s[0:1]
	s_cbranch_vccnz .LBB7_25
; %bb.24:
	v_mad_u64_u32 v[6:7], s[4:5], v2, s3, 0
	s_ashr_i32 s8, s3, 31
	v_mov_b32_e32 v8, v7
	v_mad_u64_u32 v[8:9], s[4:5], v2, s8, v[8:9]
	v_mov_b32_e32 v7, v8
	v_lshlrev_b64 v[6:7], 2, v[6:7]
	v_mov_b32_e32 v8, s12
	v_add_co_u32_e32 v9, vcc, s2, v6
	v_addc_co_u32_e32 v10, vcc, v8, v7, vcc
	v_lshlrev_b64 v[6:7], 2, v[0:1]
	v_add_co_u32_e32 v8, vcc, v9, v6
	v_addc_co_u32_e32 v9, vcc, v10, v7, vcc
	global_load_dword v12, v[8:9], off
	v_mad_u64_u32 v[8:9], s[4:5], v2, s22, 0
	s_ashr_i32 s8, s22, 31
	v_mov_b32_e32 v10, v9
	v_mad_u64_u32 v[10:11], s[4:5], v2, s8, v[10:11]
	v_mov_b32_e32 v9, v10
	v_lshlrev_b64 v[8:9], 2, v[8:9]
	v_mov_b32_e32 v13, s15
	v_add_co_u32_e32 v8, vcc, s14, v8
	v_addc_co_u32_e32 v9, vcc, v13, v9, vcc
	v_add_co_u32_e32 v6, vcc, v8, v6
	v_addc_co_u32_e32 v7, vcc, v9, v7, vcc
	s_mov_b64 s[4:5], 0
	s_waitcnt vmcnt(0)
	v_mul_f32_e64 v8, v12, -v3
	global_store_dword v[6:7], v8, off
.LBB7_25:
	s_andn2_b64 vcc, exec, s[4:5]
	s_cbranch_vccnz .LBB7_27
; %bb.26:
	v_mad_u64_u32 v[6:7], s[4:5], v2, s22, 0
	s_ashr_i32 s8, s22, 31
	v_mov_b32_e32 v8, v7
	v_mad_u64_u32 v[8:9], s[4:5], v2, s8, v[8:9]
	v_mov_b32_e32 v7, v8
	v_lshlrev_b64 v[6:7], 2, v[6:7]
	v_mov_b32_e32 v8, s15
	v_add_co_u32_e32 v9, vcc, s14, v6
	v_addc_co_u32_e32 v10, vcc, v8, v7, vcc
	v_lshlrev_b64 v[6:7], 2, v[0:1]
	v_add_co_u32_e32 v8, vcc, v9, v6
	v_addc_co_u32_e32 v9, vcc, v10, v7, vcc
	v_mad_u64_u32 v[10:11], s[4:5], v2, s3, 0
	s_ashr_i32 s8, s3, 31
	v_mov_b32_e32 v12, v11
	v_mad_u64_u32 v[12:13], s[4:5], v2, s8, v[12:13]
	v_mov_b32_e32 v11, v12
	v_lshlrev_b64 v[10:11], 2, v[10:11]
	v_mov_b32_e32 v12, s12
	v_add_co_u32_e32 v10, vcc, s2, v10
	v_addc_co_u32_e32 v11, vcc, v12, v11, vcc
	v_add_co_u32_e32 v6, vcc, v10, v6
	v_addc_co_u32_e32 v7, vcc, v11, v7, vcc
	global_load_dword v14, v[8:9], off
	s_nop 0
	global_load_dword v6, v[6:7], off
	s_waitcnt vmcnt(0)
	v_add_f32_e32 v6, v14, v6
	v_mul_f32_e64 v6, v6, -v3
	global_store_dword v[8:9], v6, off
.LBB7_27:
	s_mov_b64 s[4:5], 0
.LBB7_28:
	s_andn2_b64 vcc, exec, s[4:5]
	s_cbranch_vccnz .LBB7_33
; %bb.29:
	s_mov_b64 s[4:5], -1
	s_and_b64 vcc, exec, s[0:1]
	v_lshlrev_b64 v[6:7], 2, v[0:1]
	s_cbranch_vccnz .LBB7_31
; %bb.30:
	v_mad_u64_u32 v[8:9], s[0:1], v0, s3, 0
	s_ashr_i32 s4, s3, 31
	v_mov_b32_e32 v10, v9
	v_mad_u64_u32 v[10:11], s[0:1], v0, s4, v[10:11]
	v_mov_b32_e32 v9, v10
	v_lshlrev_b64 v[8:9], 2, v[8:9]
	v_mov_b32_e32 v1, s12
	v_add_co_u32_e32 v8, vcc, s2, v8
	v_addc_co_u32_e32 v1, vcc, v1, v9, vcc
	v_add_co_u32_e32 v8, vcc, v8, v4
	v_addc_co_u32_e32 v9, vcc, v1, v5, vcc
	global_load_dword v1, v[8:9], off
	v_mad_u64_u32 v[8:9], s[0:1], v2, s22, 0
	s_ashr_i32 s4, s22, 31
	v_mov_b32_e32 v10, v9
	v_mad_u64_u32 v[10:11], s[0:1], v2, s4, v[10:11]
	v_mov_b32_e32 v9, v10
	v_lshlrev_b64 v[8:9], 2, v[8:9]
	v_mov_b32_e32 v12, s15
	v_add_co_u32_e32 v8, vcc, s14, v8
	v_addc_co_u32_e32 v9, vcc, v12, v9, vcc
	v_add_co_u32_e32 v8, vcc, v8, v6
	v_addc_co_u32_e32 v9, vcc, v9, v7, vcc
	s_mov_b64 s[4:5], 0
	s_waitcnt vmcnt(0)
	v_mul_f32_e64 v1, v1, -v3
	global_store_dword v[8:9], v1, off
.LBB7_31:
	s_andn2_b64 vcc, exec, s[4:5]
	s_cbranch_vccnz .LBB7_33
; %bb.32:
	v_mad_u64_u32 v[8:9], s[0:1], v2, s22, 0
	s_ashr_i32 s4, s22, 31
	v_mov_b32_e32 v10, v9
	v_mad_u64_u32 v[10:11], s[0:1], v2, s4, v[10:11]
	v_mov_b32_e32 v9, v10
	v_lshlrev_b64 v[8:9], 2, v[8:9]
	v_mov_b32_e32 v1, s15
	v_add_co_u32_e32 v2, vcc, s14, v8
	v_addc_co_u32_e32 v1, vcc, v1, v9, vcc
	v_mad_u64_u32 v[8:9], s[0:1], v0, s3, 0
	v_add_co_u32_e32 v6, vcc, v2, v6
	s_ashr_i32 s4, s3, 31
	v_mov_b32_e32 v2, v9
	v_addc_co_u32_e32 v7, vcc, v1, v7, vcc
	s_waitcnt vmcnt(0)
	v_mad_u64_u32 v[0:1], s[0:1], v0, s4, v[2:3]
	v_mov_b32_e32 v9, v0
	v_lshlrev_b64 v[0:1], 2, v[8:9]
	v_mov_b32_e32 v2, s12
	v_add_co_u32_e32 v0, vcc, s2, v0
	v_addc_co_u32_e32 v1, vcc, v2, v1, vcc
	v_add_co_u32_e32 v0, vcc, v0, v4
	v_addc_co_u32_e32 v1, vcc, v1, v5, vcc
	global_load_dword v10, v[6:7], off
	s_nop 0
	global_load_dword v0, v[0:1], off
	s_waitcnt vmcnt(0)
	v_add_f32_e32 v0, v10, v0
	v_mul_f32_e64 v0, v0, -v3
	global_store_dword v[6:7], v0, off
.LBB7_33:
	s_or_b64 exec, exec, s[6:7]
                                        ; implicit-def: $vgpr2
.LBB7_34:
	s_andn2_saveexec_b64 s[0:1], s[10:11]
	s_cbranch_execz .LBB7_36
; %bb.35:
	s_waitcnt vmcnt(0)
	v_mov_b32_e32 v3, 0
	v_lshlrev_b64 v[0:1], 2, v[2:3]
	v_mov_b32_e32 v3, s17
	v_add_co_u32_e32 v4, vcc, s16, v0
	v_addc_co_u32_e32 v5, vcc, v3, v1, vcc
	global_load_dword v7, v[4:5], off
	v_mad_u64_u32 v[4:5], s[0:1], v2, s22, 0
	s_ashr_i32 s2, s22, 31
	v_mov_b32_e32 v6, v5
	s_waitcnt vmcnt(0)
	v_mad_u64_u32 v[2:3], s[0:1], v2, s2, v[6:7]
	v_mov_b32_e32 v5, v2
	v_lshlrev_b64 v[2:3], 2, v[4:5]
	v_mov_b32_e32 v4, s15
	v_add_co_u32_e32 v2, vcc, s14, v2
	v_addc_co_u32_e32 v3, vcc, v4, v3, vcc
	v_add_co_u32_e32 v0, vcc, v2, v0
	v_addc_co_u32_e32 v1, vcc, v3, v1, vcc
	global_store_dword v[0:1], v7, off
.LBB7_36:
	s_endpgm
	.section	.rodata,"a",@progbits
	.p2align	6, 0x0
	.amdhsa_kernel _ZN9rocsolver6v33100L14set_triangularIfPfTnNSt9enable_ifIXnt18rocblas_is_complexIT_EEiE4typeELi0EEEviiT0_iilPS4_lS8_il15rocblas_direct_15rocblas_storev_b
		.amdhsa_group_segment_fixed_size 0
		.amdhsa_private_segment_fixed_size 0
		.amdhsa_kernarg_size 344
		.amdhsa_user_sgpr_count 6
		.amdhsa_user_sgpr_private_segment_buffer 1
		.amdhsa_user_sgpr_dispatch_ptr 0
		.amdhsa_user_sgpr_queue_ptr 0
		.amdhsa_user_sgpr_kernarg_segment_ptr 1
		.amdhsa_user_sgpr_dispatch_id 0
		.amdhsa_user_sgpr_flat_scratch_init 0
		.amdhsa_user_sgpr_kernarg_preload_length 0
		.amdhsa_user_sgpr_kernarg_preload_offset 0
		.amdhsa_user_sgpr_private_segment_size 0
		.amdhsa_uses_dynamic_stack 0
		.amdhsa_system_sgpr_private_segment_wavefront_offset 0
		.amdhsa_system_sgpr_workgroup_id_x 1
		.amdhsa_system_sgpr_workgroup_id_y 1
		.amdhsa_system_sgpr_workgroup_id_z 1
		.amdhsa_system_sgpr_workgroup_info 0
		.amdhsa_system_vgpr_workitem_id 1
		.amdhsa_next_free_vgpr 15
		.amdhsa_next_free_sgpr 23
		.amdhsa_accum_offset 16
		.amdhsa_reserve_vcc 1
		.amdhsa_reserve_flat_scratch 0
		.amdhsa_float_round_mode_32 0
		.amdhsa_float_round_mode_16_64 0
		.amdhsa_float_denorm_mode_32 3
		.amdhsa_float_denorm_mode_16_64 3
		.amdhsa_dx10_clamp 1
		.amdhsa_ieee_mode 1
		.amdhsa_fp16_overflow 0
		.amdhsa_tg_split 0
		.amdhsa_exception_fp_ieee_invalid_op 0
		.amdhsa_exception_fp_denorm_src 0
		.amdhsa_exception_fp_ieee_div_zero 0
		.amdhsa_exception_fp_ieee_overflow 0
		.amdhsa_exception_fp_ieee_underflow 0
		.amdhsa_exception_fp_ieee_inexact 0
		.amdhsa_exception_int_div_zero 0
	.end_amdhsa_kernel
	.section	.text._ZN9rocsolver6v33100L14set_triangularIfPfTnNSt9enable_ifIXnt18rocblas_is_complexIT_EEiE4typeELi0EEEviiT0_iilPS4_lS8_il15rocblas_direct_15rocblas_storev_b,"axG",@progbits,_ZN9rocsolver6v33100L14set_triangularIfPfTnNSt9enable_ifIXnt18rocblas_is_complexIT_EEiE4typeELi0EEEviiT0_iilPS4_lS8_il15rocblas_direct_15rocblas_storev_b,comdat
.Lfunc_end7:
	.size	_ZN9rocsolver6v33100L14set_triangularIfPfTnNSt9enable_ifIXnt18rocblas_is_complexIT_EEiE4typeELi0EEEviiT0_iilPS4_lS8_il15rocblas_direct_15rocblas_storev_b, .Lfunc_end7-_ZN9rocsolver6v33100L14set_triangularIfPfTnNSt9enable_ifIXnt18rocblas_is_complexIT_EEiE4typeELi0EEEviiT0_iilPS4_lS8_il15rocblas_direct_15rocblas_storev_b
                                        ; -- End function
	.section	.AMDGPU.csdata,"",@progbits
; Kernel info:
; codeLenInByte = 2132
; NumSgprs: 27
; NumVgprs: 15
; NumAgprs: 0
; TotalNumVgprs: 15
; ScratchSize: 0
; MemoryBound: 0
; FloatMode: 240
; IeeeMode: 1
; LDSByteSize: 0 bytes/workgroup (compile time only)
; SGPRBlocks: 3
; VGPRBlocks: 1
; NumSGPRsForWavesPerEU: 27
; NumVGPRsForWavesPerEU: 15
; AccumOffset: 16
; Occupancy: 8
; WaveLimiterHint : 0
; COMPUTE_PGM_RSRC2:SCRATCH_EN: 0
; COMPUTE_PGM_RSRC2:USER_SGPR: 6
; COMPUTE_PGM_RSRC2:TRAP_HANDLER: 0
; COMPUTE_PGM_RSRC2:TGID_X_EN: 1
; COMPUTE_PGM_RSRC2:TGID_Y_EN: 1
; COMPUTE_PGM_RSRC2:TGID_Z_EN: 1
; COMPUTE_PGM_RSRC2:TIDIG_COMP_CNT: 1
; COMPUTE_PGM_RSRC3_GFX90A:ACCUM_OFFSET: 3
; COMPUTE_PGM_RSRC3_GFX90A:TG_SPLIT: 0
	.section	.text._ZN9rocsolver6v33100L7set_tauIfEEviPT_l,"axG",@progbits,_ZN9rocsolver6v33100L7set_tauIfEEviPT_l,comdat
	.globl	_ZN9rocsolver6v33100L7set_tauIfEEviPT_l ; -- Begin function _ZN9rocsolver6v33100L7set_tauIfEEviPT_l
	.p2align	8
	.type	_ZN9rocsolver6v33100L7set_tauIfEEviPT_l,@function
_ZN9rocsolver6v33100L7set_tauIfEEviPT_l: ; @_ZN9rocsolver6v33100L7set_tauIfEEviPT_l
; %bb.0:
	s_load_dword s0, s[4:5], 0x24
	s_load_dword s1, s[4:5], 0x0
	s_waitcnt lgkmcnt(0)
	s_and_b32 s0, s0, 0xffff
	s_mul_i32 s6, s6, s0
	v_add_u32_e32 v0, s6, v0
	v_cmp_gt_u32_e32 vcc, s1, v0
	s_and_saveexec_b64 s[0:1], vcc
	s_cbranch_execz .LBB8_2
; %bb.1:
	s_load_dwordx4 s[0:3], s[4:5], 0x8
	v_mov_b32_e32 v1, 0
	v_lshlrev_b64 v[0:1], 2, v[0:1]
	s_waitcnt lgkmcnt(0)
	s_mul_i32 s3, s7, s3
	s_mul_hi_u32 s4, s7, s2
	s_mul_i32 s2, s7, s2
	s_add_i32 s3, s4, s3
	s_lshl_b64 s[2:3], s[2:3], 2
	s_add_u32 s0, s0, s2
	s_addc_u32 s1, s1, s3
	v_mov_b32_e32 v2, s1
	v_add_co_u32_e32 v0, vcc, s0, v0
	v_addc_co_u32_e32 v1, vcc, v2, v1, vcc
	global_load_dword v2, v[0:1], off
	s_waitcnt vmcnt(0)
	v_xor_b32_e32 v2, 0x80000000, v2
	global_store_dword v[0:1], v2, off
.LBB8_2:
	s_endpgm
	.section	.rodata,"a",@progbits
	.p2align	6, 0x0
	.amdhsa_kernel _ZN9rocsolver6v33100L7set_tauIfEEviPT_l
		.amdhsa_group_segment_fixed_size 0
		.amdhsa_private_segment_fixed_size 0
		.amdhsa_kernarg_size 280
		.amdhsa_user_sgpr_count 6
		.amdhsa_user_sgpr_private_segment_buffer 1
		.amdhsa_user_sgpr_dispatch_ptr 0
		.amdhsa_user_sgpr_queue_ptr 0
		.amdhsa_user_sgpr_kernarg_segment_ptr 1
		.amdhsa_user_sgpr_dispatch_id 0
		.amdhsa_user_sgpr_flat_scratch_init 0
		.amdhsa_user_sgpr_kernarg_preload_length 0
		.amdhsa_user_sgpr_kernarg_preload_offset 0
		.amdhsa_user_sgpr_private_segment_size 0
		.amdhsa_uses_dynamic_stack 0
		.amdhsa_system_sgpr_private_segment_wavefront_offset 0
		.amdhsa_system_sgpr_workgroup_id_x 1
		.amdhsa_system_sgpr_workgroup_id_y 1
		.amdhsa_system_sgpr_workgroup_id_z 0
		.amdhsa_system_sgpr_workgroup_info 0
		.amdhsa_system_vgpr_workitem_id 0
		.amdhsa_next_free_vgpr 3
		.amdhsa_next_free_sgpr 8
		.amdhsa_accum_offset 4
		.amdhsa_reserve_vcc 1
		.amdhsa_reserve_flat_scratch 0
		.amdhsa_float_round_mode_32 0
		.amdhsa_float_round_mode_16_64 0
		.amdhsa_float_denorm_mode_32 3
		.amdhsa_float_denorm_mode_16_64 3
		.amdhsa_dx10_clamp 1
		.amdhsa_ieee_mode 1
		.amdhsa_fp16_overflow 0
		.amdhsa_tg_split 0
		.amdhsa_exception_fp_ieee_invalid_op 0
		.amdhsa_exception_fp_denorm_src 0
		.amdhsa_exception_fp_ieee_div_zero 0
		.amdhsa_exception_fp_ieee_overflow 0
		.amdhsa_exception_fp_ieee_underflow 0
		.amdhsa_exception_fp_ieee_inexact 0
		.amdhsa_exception_int_div_zero 0
	.end_amdhsa_kernel
	.section	.text._ZN9rocsolver6v33100L7set_tauIfEEviPT_l,"axG",@progbits,_ZN9rocsolver6v33100L7set_tauIfEEviPT_l,comdat
.Lfunc_end8:
	.size	_ZN9rocsolver6v33100L7set_tauIfEEviPT_l, .Lfunc_end8-_ZN9rocsolver6v33100L7set_tauIfEEviPT_l
                                        ; -- End function
	.section	.AMDGPU.csdata,"",@progbits
; Kernel info:
; codeLenInByte = 144
; NumSgprs: 12
; NumVgprs: 3
; NumAgprs: 0
; TotalNumVgprs: 3
; ScratchSize: 0
; MemoryBound: 0
; FloatMode: 240
; IeeeMode: 1
; LDSByteSize: 0 bytes/workgroup (compile time only)
; SGPRBlocks: 1
; VGPRBlocks: 0
; NumSGPRsForWavesPerEU: 12
; NumVGPRsForWavesPerEU: 3
; AccumOffset: 4
; Occupancy: 8
; WaveLimiterHint : 0
; COMPUTE_PGM_RSRC2:SCRATCH_EN: 0
; COMPUTE_PGM_RSRC2:USER_SGPR: 6
; COMPUTE_PGM_RSRC2:TRAP_HANDLER: 0
; COMPUTE_PGM_RSRC2:TGID_X_EN: 1
; COMPUTE_PGM_RSRC2:TGID_Y_EN: 1
; COMPUTE_PGM_RSRC2:TGID_Z_EN: 0
; COMPUTE_PGM_RSRC2:TIDIG_COMP_CNT: 0
; COMPUTE_PGM_RSRC3_GFX90A:ACCUM_OFFSET: 0
; COMPUTE_PGM_RSRC3_GFX90A:TG_SPLIT: 0
	.section	.text._ZN9rocsolver6v33100L20larft_kernel_forwardIfPfEEv15rocblas_storev_iiT0_iilPT_lS6_il,"axG",@progbits,_ZN9rocsolver6v33100L20larft_kernel_forwardIfPfEEv15rocblas_storev_iiT0_iilPT_lS6_il,comdat
	.globl	_ZN9rocsolver6v33100L20larft_kernel_forwardIfPfEEv15rocblas_storev_iiT0_iilPT_lS6_il ; -- Begin function _ZN9rocsolver6v33100L20larft_kernel_forwardIfPfEEv15rocblas_storev_iiT0_iilPT_lS6_il
	.p2align	8
	.type	_ZN9rocsolver6v33100L20larft_kernel_forwardIfPfEEv15rocblas_storev_iiT0_iilPT_lS6_il,@function
_ZN9rocsolver6v33100L20larft_kernel_forwardIfPfEEv15rocblas_storev_iiT0_iilPT_lS6_il: ; @_ZN9rocsolver6v33100L20larft_kernel_forwardIfPfEEv15rocblas_storev_iiT0_iilPT_lS6_il
; %bb.0:
	s_load_dword s2, s[4:5], 0x5c
	s_load_dword s30, s[4:5], 0x40
	s_load_dwordx2 s[0:1], s[4:5], 0x48
	s_load_dwordx4 s[16:19], s[4:5], 0x0
	s_load_dwordx8 s[8:15], s[4:5], 0x20
	s_waitcnt lgkmcnt(0)
	s_and_b32 s19, s2, 0xffff
	s_ashr_i32 s6, s7, 31
	s_mul_i32 s1, s7, s1
	s_mul_hi_u32 s2, s7, s0
	s_add_i32 s1, s2, s1
	s_mul_i32 s2, s6, s0
	s_add_i32 s1, s1, s2
	s_mul_i32 s0, s7, s0
	s_lshl_b64 s[0:1], s[0:1], 2
	s_add_u32 s31, s14, s0
	s_addc_u32 s33, s15, s1
	s_lshl_b32 s34, s18, 2
	s_mov_b32 s36, 0
	s_add_i32 s35, s34, 0
	v_cmp_gt_i32_e64 s[0:1], s18, v0
	v_xad_u32 v1, v0, -1, s18
	v_lshlrev_b32_e32 v10, 1, v0
	v_sub_u32_e32 v11, s18, v0
	s_and_saveexec_b64 s[14:15], s[0:1]
	s_cbranch_execz .LBB9_12
; %bb.1:
	s_lshl_b32 s37, s19, 1
	s_cmp_lg_u32 s30, 1
	v_lshlrev_b32_e32 v3, 1, v0
	s_cselect_b64 s[2:3], -1, 0
	s_mov_b32 s38, s18
	v_sub_u32_e32 v12, s18, v0
	v_lshl_add_u32 v2, v0, 2, s35
	s_lshl_b32 s39, s19, 2
	s_mov_b64 s[20:21], 0
	s_xor_b64 s[22:23], s[2:3], -1
	v_mov_b32_e32 v13, v3
	v_mov_b32_e32 v4, v0
	s_branch .LBB9_3
.LBB9_2:                                ;   in Loop: Header=BB9_3 Depth=1
	s_or_b64 exec, exec, s[2:3]
	v_add_u32_e32 v4, s19, v4
	s_add_i32 s36, s36, 1
	v_cmp_le_i32_e32 vcc, s18, v4
	v_add_u32_e32 v13, s37, v13
	v_subrev_u32_e32 v12, s19, v12
	s_or_b64 s[20:21], vcc, s[20:21]
	v_add_u32_e32 v2, s39, v2
	s_andn2_b64 exec, exec, s[20:21]
	s_cbranch_execz .LBB9_12
.LBB9_3:                                ; =>This Loop Header: Depth=1
                                        ;     Child Loop BB9_6 Depth 2
                                        ;     Child Loop BB9_11 Depth 2
	s_mul_i32 s26, s36, s19
	v_add_u32_e32 v5, s26, v0
	v_sub_u32_e32 v14, s18, v5
	v_cmp_gt_u32_e32 vcc, 4, v14
	v_cmp_lt_u32_e64 s[2:3], 3, v14
	v_mov_b32_e32 v5, v4
	s_and_saveexec_b64 s[24:25], s[2:3]
	s_cbranch_execz .LBB9_9
; %bb.4:                                ;   in Loop: Header=BB9_3 Depth=1
	s_mul_i32 s2, s37, s36
	v_add_u32_e32 v5, s2, v3
	v_subrev_u32_e32 v6, s26, v1
	v_add_u32_e32 v6, v5, v6
	v_cmp_ge_i32_e64 s[2:3], v6, v5
	s_mov_b64 s[28:29], -1
	s_and_b64 s[2:3], s[22:23], s[2:3]
	v_mov_b32_e32 v5, v4
	s_and_saveexec_b64 s[26:27], s[2:3]
	s_cbranch_execz .LBB9_8
; %bb.5:                                ;   in Loop: Header=BB9_3 Depth=1
	v_add_u32_e32 v5, 1, v4
	v_and_b32_e32 v15, -2, v12
	v_lshl_add_u32 v16, v4, 2, s35
	s_mov_b64 s[28:29], 0
	v_mov_b32_e32 v6, v13
	v_pk_mov_b32 v[8:9], v[4:5], v[4:5] op_sel:[0,1]
.LBB9_6:                                ;   Parent Loop BB9_3 Depth=1
                                        ; =>  This Inner Loop Header: Depth=2
	v_ashrrev_i32_e32 v7, 31, v6
	v_lshlrev_b64 v[18:19], 2, v[6:7]
	v_mov_b32_e32 v5, s33
	v_add_co_u32_e64 v18, s[2:3], s31, v18
	v_addc_co_u32_e64 v19, s[2:3], v5, v19, s[2:3]
	global_load_dwordx2 v[18:19], v[18:19], off
	v_add_u32_e32 v15, -2, v15
	v_mul_lo_u32 v7, v8, s18
	v_cmp_eq_u32_e64 s[2:3], 0, v15
	v_mul_lo_u32 v5, v9, s38
	v_add_u32_e32 v9, 2, v9
	v_add_u32_e32 v8, 2, v8
	v_lshl_add_u32 v7, v7, 2, v16
	v_add_u32_e32 v6, 2, v6
	s_or_b64 s[28:29], s[2:3], s[28:29]
	v_lshl_add_u32 v5, v5, 2, v16
	s_waitcnt vmcnt(0)
	ds_write_b32 v7, v18
	ds_write_b32 v5, v19
	s_andn2_b64 exec, exec, s[28:29]
	s_cbranch_execnz .LBB9_6
; %bb.7:                                ;   in Loop: Header=BB9_3 Depth=1
	s_or_b64 exec, exec, s[28:29]
	v_and_b32_e32 v6, -2, v14
	v_cmp_ne_u32_e64 s[2:3], v14, v6
	v_add_u32_e32 v5, v4, v6
	s_orn2_b64 s[28:29], s[2:3], exec
.LBB9_8:                                ;   in Loop: Header=BB9_3 Depth=1
	s_or_b64 exec, exec, s[26:27]
	s_andn2_b64 s[2:3], vcc, exec
	s_and_b64 s[26:27], s[28:29], exec
	s_or_b64 vcc, s[2:3], s[26:27]
.LBB9_9:                                ;   in Loop: Header=BB9_3 Depth=1
	s_or_b64 exec, exec, s[24:25]
	s_and_saveexec_b64 s[2:3], vcc
	s_cbranch_execz .LBB9_2
; %bb.10:                               ;   in Loop: Header=BB9_3 Depth=1
	v_mad_u64_u32 v[6:7], s[24:25], s34, v5, v[2:3]
	v_mad_u64_u32 v[8:9], s[24:25], s30, v5, v[4:5]
	s_mov_b64 s[24:25], 0
.LBB9_11:                               ;   Parent Loop BB9_3 Depth=1
                                        ; =>  This Inner Loop Header: Depth=2
	v_ashrrev_i32_e32 v9, 31, v8
	v_lshlrev_b64 v[14:15], 2, v[8:9]
	v_mov_b32_e32 v7, s33
	v_add_co_u32_e32 v14, vcc, s31, v14
	v_addc_co_u32_e32 v15, vcc, v7, v15, vcc
	global_load_dword v7, v[14:15], off
	v_add_u32_e32 v5, 1, v5
	v_cmp_le_i32_e32 vcc, s18, v5
	v_add_u32_e32 v8, s30, v8
	s_or_b64 s[24:25], vcc, s[24:25]
	s_waitcnt vmcnt(0)
	ds_write_b32 v6, v7
	v_add_u32_e32 v6, s34, v6
	s_andn2_b64 exec, exec, s[24:25]
	s_cbranch_execnz .LBB9_11
	s_branch .LBB9_2
.LBB9_12:
	s_or_b64 exec, exec, s[14:15]
	s_cmp_lt_i32 s18, 2
	s_waitcnt lgkmcnt(0)
	s_barrier
	s_cbranch_scc1 .LBB9_38
; %bb.13:
	s_load_dwordx4 s[20:23], s[4:5], 0x10
	s_mul_i32 s2, s7, s13
	s_mul_hi_u32 s3, s7, s12
	s_add_i32 s4, s3, s2
	s_mul_i32 s5, s6, s12
	s_add_i32 s5, s4, s5
	s_mul_i32 s4, s7, s12
	s_waitcnt lgkmcnt(0)
	s_ashr_i32 s3, s22, 31
	s_lshl_b64 s[4:5], s[4:5], 2
	s_mov_b32 s2, s22
	s_add_u32 s22, s10, s4
	s_addc_u32 s28, s11, s5
	s_cmpk_lg_i32 s16, 0xb5
	s_mul_i32 s6, s8, s6
	s_mul_hi_u32 s10, s8, s7
	s_cselect_b64 s[4:5], -1, 0
	s_add_i32 s6, s10, s6
	s_mul_i32 s9, s9, s7
	s_add_i32 s9, s6, s9
	s_mul_i32 s8, s8, s7
	s_lshl_b64 s[12:13], s[8:9], 2
	s_add_u32 s16, s12, 4
	s_addc_u32 s29, s13, 0
	s_lshl_b64 s[2:3], s[2:3], 2
	s_add_u32 s36, s20, s2
	s_addc_u32 s37, s21, s3
	s_ashr_i32 s11, s23, 31
	s_mov_b32 s10, s23
	s_lshl_b32 s8, s23, 1
	s_lshl_b64 s[10:11], s[10:11], 2
	s_lshl_b32 s38, s19, 2
	s_add_u32 s2, s12, s2
	s_addc_u32 s3, s13, s3
	s_add_u32 s2, s2, s20
	v_lshlrev_b32_e32 v4, 2, v0
	s_addc_u32 s3, s3, s21
	s_add_u32 s40, s2, 8
	v_add_u32_e32 v5, 4, v4
	s_mov_b32 s7, 0
	v_mov_b32_e32 v3, s13
	v_add_co_u32_e32 v2, vcc, s12, v4
	s_addc_u32 s41, s3, 0
	v_mul_lo_u32 v5, s18, v5
	s_add_i32 s43, s34, 4
	s_mov_b32 s6, 1
	v_addc_co_u32_e32 v3, vcc, 0, v3, vcc
	s_mov_b32 s39, s7
	v_mul_lo_u32 v8, v0, s23
	s_mul_i32 s42, s23, s19
	v_add3_u32 v9, v5, v4, 0
	s_mul_i32 s43, s43, s19
	v_add_u32_e32 v12, 0, v4
	s_mov_b32 s12, s23
	s_branch .LBB9_15
.LBB9_14:                               ;   in Loop: Header=BB9_15 Depth=1
	s_or_b64 exec, exec, s[2:3]
	s_add_i32 s6, s6, 1
	s_add_u32 s16, s16, 4
	s_addc_u32 s29, s29, 0
	s_add_i32 s8, s8, s23
	s_add_u32 s40, s40, 4
	s_addc_u32 s41, s41, 0
	s_add_i32 s12, s12, s23
	s_cmp_eq_u32 s6, s18
	s_waitcnt lgkmcnt(0)
	s_barrier
	s_cbranch_scc1 .LBB9_38
.LBB9_15:                               ; =>This Loop Header: Depth=1
                                        ;     Child Loop BB9_20 Depth 2
                                        ;       Child Loop BB9_22 Depth 3
                                        ;     Child Loop BB9_29 Depth 2
                                        ;       Child Loop BB9_31 Depth 3
	;; [unrolled: 2-line block ×3, first 2 shown]
	s_mul_i32 s2, s6, s18
	s_not_b32 s45, s6
	s_lshl_b32 s2, s2, 2
	s_add_i32 s45, s45, s17
	s_add_i32 s44, s35, s2
	s_mov_b64 s[14:15], -1
	s_and_b64 vcc, exec, s[4:5]
	v_cmp_gt_u32_e64 s[2:3], s6, v0
	s_cbranch_vccz .LBB9_24
; %bb.16:                               ;   in Loop: Header=BB9_15 Depth=1
	s_and_saveexec_b64 s[14:15], s[2:3]
	s_cbranch_execz .LBB9_23
; %bb.17:                               ;   in Loop: Header=BB9_15 Depth=1
	s_ashr_i32 s9, s8, 31
	s_lshl_b64 s[2:3], s[8:9], 2
	s_add_u32 s2, s36, s2
	s_addc_u32 s3, s37, s3
	s_cmp_gt_i32 s45, 0
	s_cselect_b64 s[20:21], -1, 0
	s_lshl_b64 s[24:25], s[6:7], 2
	s_add_u32 s24, s22, s24
	s_addc_u32 s25, s28, s25
	s_load_dword s9, s[24:25], 0x0
	s_mov_b64 s[24:25], 0
	v_pk_mov_b32 v[4:5], v[2:3], v[2:3] op_sel:[0,1]
	v_mov_b32_e32 v6, v0
	s_branch .LBB9_20
.LBB9_18:                               ;   in Loop: Header=BB9_20 Depth=2
	v_mov_b32_e32 v7, 0
.LBB9_19:                               ;   in Loop: Header=BB9_20 Depth=2
	v_lshlrev_b32_e32 v13, 2, v6
	v_add_u32_e32 v14, s44, v13
	ds_read_b32 v14, v14
	v_add_u32_e32 v6, s19, v6
	v_cmp_le_u32_e32 vcc, s6, v6
	v_mov_b32_e32 v15, s39
	s_or_b64 s[24:25], vcc, s[24:25]
	v_add_co_u32_e32 v4, vcc, s38, v4
	v_add_u32_e32 v13, 0, v13
	s_waitcnt lgkmcnt(0)
	v_fmac_f32_e32 v14, s9, v7
	v_addc_co_u32_e32 v5, vcc, v5, v15, vcc
	ds_write_b32 v13, v14
	s_andn2_b64 exec, exec, s[24:25]
	s_cbranch_execz .LBB9_23
.LBB9_20:                               ;   Parent Loop BB9_15 Depth=1
                                        ; =>  This Loop Header: Depth=2
                                        ;       Child Loop BB9_22 Depth 3
	s_andn2_b64 vcc, exec, s[20:21]
	s_cbranch_vccnz .LBB9_18
; %bb.21:                               ;   in Loop: Header=BB9_20 Depth=2
	s_mov_b32 s13, 0
	v_mov_b32_e32 v7, 0
	s_mov_b64 s[26:27], s[2:3]
.LBB9_22:                               ;   Parent Loop BB9_15 Depth=1
                                        ;     Parent Loop BB9_20 Depth=2
                                        ; =>    This Inner Loop Header: Depth=3
	v_mov_b32_e32 v13, s27
	v_add_co_u32_e32 v14, vcc, s26, v4
	v_addc_co_u32_e32 v15, vcc, v13, v5, vcc
	global_load_dword v13, v[14:15], off
	s_add_u32 s46, s26, s16
	s_addc_u32 s47, s27, s29
	s_load_dword s46, s[46:47], 0x0
	s_add_i32 s13, s13, 1
	s_add_u32 s26, s26, s10
	s_addc_u32 s27, s27, s11
	s_cmp_ge_i32 s13, s45
	s_waitcnt vmcnt(0) lgkmcnt(0)
	v_fmac_f32_e32 v7, s46, v13
	s_cbranch_scc0 .LBB9_22
	s_branch .LBB9_19
.LBB9_23:                               ;   in Loop: Header=BB9_15 Depth=1
	s_or_b64 exec, exec, s[14:15]
	s_mov_b64 s[14:15], 0
.LBB9_24:                               ;   in Loop: Header=BB9_15 Depth=1
	s_andn2_b64 vcc, exec, s[14:15]
	s_cbranch_vccnz .LBB9_33
; %bb.25:                               ;   in Loop: Header=BB9_15 Depth=1
	v_cmp_gt_u32_e32 vcc, s6, v0
	s_and_saveexec_b64 s[2:3], vcc
	s_cbranch_execz .LBB9_32
; %bb.26:                               ;   in Loop: Header=BB9_15 Depth=1
	s_ashr_i32 s13, s12, 31
	s_lshl_b64 s[14:15], s[12:13], 2
	s_add_u32 s14, s40, s14
	s_addc_u32 s15, s41, s15
	s_cmp_gt_i32 s45, 0
	s_cselect_b64 s[20:21], -1, 0
	s_lshl_b64 s[24:25], s[6:7], 2
	s_add_u32 s24, s22, s24
	s_addc_u32 s25, s28, s25
	s_load_dword s9, s[24:25], 0x0
	s_mov_b64 s[24:25], 0
	v_mov_b32_e32 v4, v8
	v_mov_b32_e32 v13, v0
	s_branch .LBB9_29
.LBB9_27:                               ;   in Loop: Header=BB9_29 Depth=2
	v_mov_b32_e32 v5, 0
.LBB9_28:                               ;   in Loop: Header=BB9_29 Depth=2
	v_lshlrev_b32_e32 v6, 2, v13
	v_add_u32_e32 v7, s44, v6
	ds_read_b32 v7, v7
	v_add_u32_e32 v13, s19, v13
	v_cmp_le_u32_e32 vcc, s6, v13
	v_add_u32_e32 v6, 0, v6
	s_or_b64 s[24:25], vcc, s[24:25]
	s_waitcnt lgkmcnt(0)
	v_fmac_f32_e32 v7, s9, v5
	v_add_u32_e32 v4, s42, v4
	ds_write_b32 v6, v7
	s_andn2_b64 exec, exec, s[24:25]
	s_cbranch_execz .LBB9_32
.LBB9_29:                               ;   Parent Loop BB9_15 Depth=1
                                        ; =>  This Loop Header: Depth=2
                                        ;       Child Loop BB9_31 Depth 3
	s_andn2_b64 vcc, exec, s[20:21]
	s_cbranch_vccnz .LBB9_27
; %bb.30:                               ;   in Loop: Header=BB9_29 Depth=2
	v_ashrrev_i32_e32 v5, 31, v4
	v_lshlrev_b64 v[6:7], 2, v[4:5]
	v_mov_b32_e32 v5, s41
	v_add_co_u32_e32 v6, vcc, s40, v6
	v_addc_co_u32_e32 v7, vcc, v5, v7, vcc
	s_mov_b32 s13, 0
	v_mov_b32_e32 v5, 0
	s_mov_b64 s[26:27], s[14:15]
.LBB9_31:                               ;   Parent Loop BB9_15 Depth=1
                                        ;     Parent Loop BB9_29 Depth=2
                                        ; =>    This Inner Loop Header: Depth=3
	global_load_dword v14, v[6:7], off
	s_load_dword s46, s[26:27], 0x0
	s_add_i32 s13, s13, 1
	s_add_u32 s26, s26, 4
	v_add_co_u32_e32 v6, vcc, 4, v6
	s_addc_u32 s27, s27, 0
	v_addc_co_u32_e32 v7, vcc, 0, v7, vcc
	s_cmp_ge_i32 s13, s45
	s_waitcnt vmcnt(0) lgkmcnt(0)
	v_fmac_f32_e32 v5, s46, v14
	s_cbranch_scc0 .LBB9_31
	s_branch .LBB9_28
.LBB9_32:                               ;   in Loop: Header=BB9_15 Depth=1
	s_or_b64 exec, exec, s[2:3]
.LBB9_33:                               ;   in Loop: Header=BB9_15 Depth=1
	v_cmp_gt_u32_e32 vcc, s6, v0
	s_waitcnt lgkmcnt(0)
	s_barrier
	s_and_saveexec_b64 s[2:3], vcc
	s_cbranch_execz .LBB9_14
; %bb.34:                               ;   in Loop: Header=BB9_15 Depth=1
	s_mov_b64 s[14:15], 0
	v_mov_b32_e32 v4, v12
	v_mov_b32_e32 v5, v9
	;; [unrolled: 1-line block ×3, first 2 shown]
.LBB9_35:                               ;   Parent Loop BB9_15 Depth=1
                                        ; =>  This Loop Header: Depth=2
                                        ;       Child Loop BB9_36 Depth 3
	v_mov_b32_e32 v7, 0
	s_mov_b64 s[20:21], 0
	v_mov_b32_e32 v13, v4
	v_mov_b32_e32 v14, v5
	v_mov_b32_e32 v15, v6
.LBB9_36:                               ;   Parent Loop BB9_15 Depth=1
                                        ;     Parent Loop BB9_35 Depth=2
                                        ; =>    This Inner Loop Header: Depth=3
	ds_read_b32 v16, v14
	ds_read_b32 v17, v13
	v_add_u32_e32 v15, 1, v15
	v_cmp_le_u32_e32 vcc, s6, v15
	v_add_u32_e32 v14, s34, v14
	v_add_u32_e32 v13, 4, v13
	s_or_b64 s[20:21], vcc, s[20:21]
	s_waitcnt lgkmcnt(0)
	v_fmac_f32_e32 v7, v16, v17
	s_andn2_b64 exec, exec, s[20:21]
	s_cbranch_execnz .LBB9_36
; %bb.37:                               ;   in Loop: Header=BB9_35 Depth=2
	s_or_b64 exec, exec, s[20:21]
	v_lshl_add_u32 v13, v6, 2, s44
	v_add_u32_e32 v6, s19, v6
	v_cmp_le_u32_e32 vcc, s6, v6
	v_add_u32_e32 v5, s43, v5
	s_or_b64 s[14:15], vcc, s[14:15]
	v_add_u32_e32 v4, s38, v4
	ds_write_b32 v13, v7
	s_andn2_b64 exec, exec, s[14:15]
	s_cbranch_execnz .LBB9_35
	s_branch .LBB9_14
.LBB9_38:
	s_and_saveexec_b64 s[2:3], s[0:1]
	s_cbranch_execz .LBB9_50
; %bb.39:
	s_lshl_b32 s14, s19, 1
	s_cmp_lg_u32 s30, 1
	s_cselect_b64 s[0:1], -1, 0
	s_mov_b32 s15, s18
	s_mov_b32 s16, 0
	v_lshl_add_u32 v2, v0, 2, s35
	s_lshl_b32 s17, s19, 2
	s_mov_b64 s[4:5], 0
	s_xor_b64 s[6:7], s[0:1], -1
	v_mov_b32_e32 v3, v10
	v_mov_b32_e32 v4, v0
	s_branch .LBB9_41
.LBB9_40:                               ;   in Loop: Header=BB9_41 Depth=1
	s_or_b64 exec, exec, s[2:3]
	v_add_u32_e32 v4, s19, v4
	s_add_i32 s16, s16, 1
	v_cmp_le_i32_e32 vcc, s18, v4
	v_add_u32_e32 v3, s14, v3
	v_subrev_u32_e32 v11, s19, v11
	s_or_b64 s[4:5], vcc, s[4:5]
	v_add_u32_e32 v2, s17, v2
	s_andn2_b64 exec, exec, s[4:5]
	s_cbranch_execz .LBB9_50
.LBB9_41:                               ; =>This Loop Header: Depth=1
                                        ;     Child Loop BB9_44 Depth 2
                                        ;     Child Loop BB9_49 Depth 2
	s_mul_i32 s2, s16, s19
	v_add_u32_e32 v5, s2, v0
	v_sub_u32_e32 v12, s18, v5
	v_cmp_gt_u32_e32 vcc, 4, v12
	v_cmp_lt_u32_e64 s[0:1], 3, v12
	v_mov_b32_e32 v5, v4
	s_and_saveexec_b64 s[8:9], s[0:1]
	s_cbranch_execz .LBB9_47
; %bb.42:                               ;   in Loop: Header=BB9_41 Depth=1
	s_mul_i32 s0, s14, s16
	v_add_u32_e32 v5, s0, v10
	v_subrev_u32_e32 v6, s2, v1
	v_add_u32_e32 v6, v5, v6
	v_cmp_ge_i32_e64 s[0:1], v6, v5
	s_mov_b64 s[2:3], -1
	s_and_b64 s[0:1], s[6:7], s[0:1]
	v_mov_b32_e32 v5, v4
	s_and_saveexec_b64 s[10:11], s[0:1]
	s_cbranch_execz .LBB9_46
; %bb.43:                               ;   in Loop: Header=BB9_41 Depth=1
	v_add_u32_e32 v5, 1, v4
	v_and_b32_e32 v13, -2, v11
	v_lshl_add_u32 v14, v4, 2, s35
	s_mov_b64 s[12:13], 0
	v_mov_b32_e32 v6, v3
	v_pk_mov_b32 v[8:9], v[4:5], v[4:5] op_sel:[0,1]
.LBB9_44:                               ;   Parent Loop BB9_41 Depth=1
                                        ; =>  This Inner Loop Header: Depth=2
	v_mul_lo_u32 v15, v8, s18
	v_mul_lo_u32 v5, v9, s15
	v_lshl_add_u32 v15, v15, 2, v14
	v_lshl_add_u32 v5, v5, 2, v14
	ds_read_b32 v18, v15
	ds_read_b32 v19, v5
	v_ashrrev_i32_e32 v7, 31, v6
	v_add_u32_e32 v13, -2, v13
	v_lshlrev_b64 v[16:17], 2, v[6:7]
	v_mov_b32_e32 v20, s33
	v_cmp_eq_u32_e64 s[0:1], 0, v13
	v_add_co_u32_e64 v16, s[2:3], s31, v16
	v_add_u32_e32 v9, 2, v9
	v_add_u32_e32 v8, 2, v8
	;; [unrolled: 1-line block ×3, first 2 shown]
	v_addc_co_u32_e64 v17, s[2:3], v20, v17, s[2:3]
	s_or_b64 s[12:13], s[0:1], s[12:13]
	s_waitcnt lgkmcnt(0)
	global_store_dwordx2 v[16:17], v[18:19], off
	s_andn2_b64 exec, exec, s[12:13]
	s_cbranch_execnz .LBB9_44
; %bb.45:                               ;   in Loop: Header=BB9_41 Depth=1
	s_or_b64 exec, exec, s[12:13]
	v_and_b32_e32 v6, -2, v12
	v_cmp_ne_u32_e64 s[0:1], v12, v6
	v_add_u32_e32 v5, v4, v6
	s_orn2_b64 s[2:3], s[0:1], exec
.LBB9_46:                               ;   in Loop: Header=BB9_41 Depth=1
	s_or_b64 exec, exec, s[10:11]
	s_andn2_b64 s[0:1], vcc, exec
	s_and_b64 s[2:3], s[2:3], exec
	s_or_b64 vcc, s[0:1], s[2:3]
.LBB9_47:                               ;   in Loop: Header=BB9_41 Depth=1
	s_or_b64 exec, exec, s[8:9]
	s_and_saveexec_b64 s[2:3], vcc
	s_cbranch_execz .LBB9_40
; %bb.48:                               ;   in Loop: Header=BB9_41 Depth=1
	v_mad_u64_u32 v[6:7], s[0:1], s30, v5, v[4:5]
	v_mad_u64_u32 v[8:9], s[0:1], s34, v5, v[2:3]
	s_mov_b64 s[8:9], 0
.LBB9_49:                               ;   Parent Loop BB9_41 Depth=1
                                        ; =>  This Inner Loop Header: Depth=2
	ds_read_b32 v9, v8
	v_ashrrev_i32_e32 v7, 31, v6
	v_add_u32_e32 v5, 1, v5
	v_lshlrev_b64 v[12:13], 2, v[6:7]
	v_mov_b32_e32 v14, s33
	v_cmp_le_i32_e32 vcc, s18, v5
	v_add_co_u32_e64 v12, s[0:1], s31, v12
	v_add_u32_e32 v8, s34, v8
	v_add_u32_e32 v6, s30, v6
	v_addc_co_u32_e64 v13, s[0:1], v14, v13, s[0:1]
	s_or_b64 s[8:9], vcc, s[8:9]
	s_waitcnt lgkmcnt(0)
	global_store_dword v[12:13], v9, off
	s_andn2_b64 exec, exec, s[8:9]
	s_cbranch_execnz .LBB9_49
	s_branch .LBB9_40
.LBB9_50:
	s_endpgm
	.section	.rodata,"a",@progbits
	.p2align	6, 0x0
	.amdhsa_kernel _ZN9rocsolver6v33100L20larft_kernel_forwardIfPfEEv15rocblas_storev_iiT0_iilPT_lS6_il
		.amdhsa_group_segment_fixed_size 0
		.amdhsa_private_segment_fixed_size 0
		.amdhsa_kernarg_size 336
		.amdhsa_user_sgpr_count 6
		.amdhsa_user_sgpr_private_segment_buffer 1
		.amdhsa_user_sgpr_dispatch_ptr 0
		.amdhsa_user_sgpr_queue_ptr 0
		.amdhsa_user_sgpr_kernarg_segment_ptr 1
		.amdhsa_user_sgpr_dispatch_id 0
		.amdhsa_user_sgpr_flat_scratch_init 0
		.amdhsa_user_sgpr_kernarg_preload_length 0
		.amdhsa_user_sgpr_kernarg_preload_offset 0
		.amdhsa_user_sgpr_private_segment_size 0
		.amdhsa_uses_dynamic_stack 0
		.amdhsa_system_sgpr_private_segment_wavefront_offset 0
		.amdhsa_system_sgpr_workgroup_id_x 1
		.amdhsa_system_sgpr_workgroup_id_y 1
		.amdhsa_system_sgpr_workgroup_id_z 0
		.amdhsa_system_sgpr_workgroup_info 0
		.amdhsa_system_vgpr_workitem_id 0
		.amdhsa_next_free_vgpr 21
		.amdhsa_next_free_sgpr 48
		.amdhsa_accum_offset 24
		.amdhsa_reserve_vcc 1
		.amdhsa_reserve_flat_scratch 0
		.amdhsa_float_round_mode_32 0
		.amdhsa_float_round_mode_16_64 0
		.amdhsa_float_denorm_mode_32 3
		.amdhsa_float_denorm_mode_16_64 3
		.amdhsa_dx10_clamp 1
		.amdhsa_ieee_mode 1
		.amdhsa_fp16_overflow 0
		.amdhsa_tg_split 0
		.amdhsa_exception_fp_ieee_invalid_op 0
		.amdhsa_exception_fp_denorm_src 0
		.amdhsa_exception_fp_ieee_div_zero 0
		.amdhsa_exception_fp_ieee_overflow 0
		.amdhsa_exception_fp_ieee_underflow 0
		.amdhsa_exception_fp_ieee_inexact 0
		.amdhsa_exception_int_div_zero 0
	.end_amdhsa_kernel
	.section	.text._ZN9rocsolver6v33100L20larft_kernel_forwardIfPfEEv15rocblas_storev_iiT0_iilPT_lS6_il,"axG",@progbits,_ZN9rocsolver6v33100L20larft_kernel_forwardIfPfEEv15rocblas_storev_iiT0_iilPT_lS6_il,comdat
.Lfunc_end9:
	.size	_ZN9rocsolver6v33100L20larft_kernel_forwardIfPfEEv15rocblas_storev_iiT0_iilPT_lS6_il, .Lfunc_end9-_ZN9rocsolver6v33100L20larft_kernel_forwardIfPfEEv15rocblas_storev_iiT0_iilPT_lS6_il
                                        ; -- End function
	.section	.AMDGPU.csdata,"",@progbits
; Kernel info:
; codeLenInByte = 2112
; NumSgprs: 52
; NumVgprs: 21
; NumAgprs: 0
; TotalNumVgprs: 21
; ScratchSize: 0
; MemoryBound: 0
; FloatMode: 240
; IeeeMode: 1
; LDSByteSize: 0 bytes/workgroup (compile time only)
; SGPRBlocks: 6
; VGPRBlocks: 2
; NumSGPRsForWavesPerEU: 52
; NumVGPRsForWavesPerEU: 21
; AccumOffset: 24
; Occupancy: 8
; WaveLimiterHint : 0
; COMPUTE_PGM_RSRC2:SCRATCH_EN: 0
; COMPUTE_PGM_RSRC2:USER_SGPR: 6
; COMPUTE_PGM_RSRC2:TRAP_HANDLER: 0
; COMPUTE_PGM_RSRC2:TGID_X_EN: 1
; COMPUTE_PGM_RSRC2:TGID_Y_EN: 1
; COMPUTE_PGM_RSRC2:TGID_Z_EN: 0
; COMPUTE_PGM_RSRC2:TIDIG_COMP_CNT: 0
; COMPUTE_PGM_RSRC3_GFX90A:ACCUM_OFFSET: 5
; COMPUTE_PGM_RSRC3_GFX90A:TG_SPLIT: 0
	.section	.text._ZN9rocsolver6v33100L13conj_in_placeIfiPfTnNSt9enable_ifIXnt18rocblas_is_complexIT_EEiE4typeELi0EEEvT0_S7_T1_lS7_l,"axG",@progbits,_ZN9rocsolver6v33100L13conj_in_placeIfiPfTnNSt9enable_ifIXnt18rocblas_is_complexIT_EEiE4typeELi0EEEvT0_S7_T1_lS7_l,comdat
	.globl	_ZN9rocsolver6v33100L13conj_in_placeIfiPfTnNSt9enable_ifIXnt18rocblas_is_complexIT_EEiE4typeELi0EEEvT0_S7_T1_lS7_l ; -- Begin function _ZN9rocsolver6v33100L13conj_in_placeIfiPfTnNSt9enable_ifIXnt18rocblas_is_complexIT_EEiE4typeELi0EEEvT0_S7_T1_lS7_l
	.p2align	8
	.type	_ZN9rocsolver6v33100L13conj_in_placeIfiPfTnNSt9enable_ifIXnt18rocblas_is_complexIT_EEiE4typeELi0EEEvT0_S7_T1_lS7_l,@function
_ZN9rocsolver6v33100L13conj_in_placeIfiPfTnNSt9enable_ifIXnt18rocblas_is_complexIT_EEiE4typeELi0EEEvT0_S7_T1_lS7_l: ; @_ZN9rocsolver6v33100L13conj_in_placeIfiPfTnNSt9enable_ifIXnt18rocblas_is_complexIT_EEiE4typeELi0EEEvT0_S7_T1_lS7_l
; %bb.0:
	s_endpgm
	.section	.rodata,"a",@progbits
	.p2align	6, 0x0
	.amdhsa_kernel _ZN9rocsolver6v33100L13conj_in_placeIfiPfTnNSt9enable_ifIXnt18rocblas_is_complexIT_EEiE4typeELi0EEEvT0_S7_T1_lS7_l
		.amdhsa_group_segment_fixed_size 0
		.amdhsa_private_segment_fixed_size 0
		.amdhsa_kernarg_size 40
		.amdhsa_user_sgpr_count 6
		.amdhsa_user_sgpr_private_segment_buffer 1
		.amdhsa_user_sgpr_dispatch_ptr 0
		.amdhsa_user_sgpr_queue_ptr 0
		.amdhsa_user_sgpr_kernarg_segment_ptr 1
		.amdhsa_user_sgpr_dispatch_id 0
		.amdhsa_user_sgpr_flat_scratch_init 0
		.amdhsa_user_sgpr_kernarg_preload_length 0
		.amdhsa_user_sgpr_kernarg_preload_offset 0
		.amdhsa_user_sgpr_private_segment_size 0
		.amdhsa_uses_dynamic_stack 0
		.amdhsa_system_sgpr_private_segment_wavefront_offset 0
		.amdhsa_system_sgpr_workgroup_id_x 1
		.amdhsa_system_sgpr_workgroup_id_y 0
		.amdhsa_system_sgpr_workgroup_id_z 0
		.amdhsa_system_sgpr_workgroup_info 0
		.amdhsa_system_vgpr_workitem_id 0
		.amdhsa_next_free_vgpr 1
		.amdhsa_next_free_sgpr 0
		.amdhsa_accum_offset 4
		.amdhsa_reserve_vcc 0
		.amdhsa_reserve_flat_scratch 0
		.amdhsa_float_round_mode_32 0
		.amdhsa_float_round_mode_16_64 0
		.amdhsa_float_denorm_mode_32 3
		.amdhsa_float_denorm_mode_16_64 3
		.amdhsa_dx10_clamp 1
		.amdhsa_ieee_mode 1
		.amdhsa_fp16_overflow 0
		.amdhsa_tg_split 0
		.amdhsa_exception_fp_ieee_invalid_op 0
		.amdhsa_exception_fp_denorm_src 0
		.amdhsa_exception_fp_ieee_div_zero 0
		.amdhsa_exception_fp_ieee_overflow 0
		.amdhsa_exception_fp_ieee_underflow 0
		.amdhsa_exception_fp_ieee_inexact 0
		.amdhsa_exception_int_div_zero 0
	.end_amdhsa_kernel
	.section	.text._ZN9rocsolver6v33100L13conj_in_placeIfiPfTnNSt9enable_ifIXnt18rocblas_is_complexIT_EEiE4typeELi0EEEvT0_S7_T1_lS7_l,"axG",@progbits,_ZN9rocsolver6v33100L13conj_in_placeIfiPfTnNSt9enable_ifIXnt18rocblas_is_complexIT_EEiE4typeELi0EEEvT0_S7_T1_lS7_l,comdat
.Lfunc_end10:
	.size	_ZN9rocsolver6v33100L13conj_in_placeIfiPfTnNSt9enable_ifIXnt18rocblas_is_complexIT_EEiE4typeELi0EEEvT0_S7_T1_lS7_l, .Lfunc_end10-_ZN9rocsolver6v33100L13conj_in_placeIfiPfTnNSt9enable_ifIXnt18rocblas_is_complexIT_EEiE4typeELi0EEEvT0_S7_T1_lS7_l
                                        ; -- End function
	.section	.AMDGPU.csdata,"",@progbits
; Kernel info:
; codeLenInByte = 4
; NumSgprs: 4
; NumVgprs: 0
; NumAgprs: 0
; TotalNumVgprs: 0
; ScratchSize: 0
; MemoryBound: 0
; FloatMode: 240
; IeeeMode: 1
; LDSByteSize: 0 bytes/workgroup (compile time only)
; SGPRBlocks: 0
; VGPRBlocks: 0
; NumSGPRsForWavesPerEU: 4
; NumVGPRsForWavesPerEU: 1
; AccumOffset: 4
; Occupancy: 8
; WaveLimiterHint : 0
; COMPUTE_PGM_RSRC2:SCRATCH_EN: 0
; COMPUTE_PGM_RSRC2:USER_SGPR: 6
; COMPUTE_PGM_RSRC2:TRAP_HANDLER: 0
; COMPUTE_PGM_RSRC2:TGID_X_EN: 1
; COMPUTE_PGM_RSRC2:TGID_Y_EN: 0
; COMPUTE_PGM_RSRC2:TGID_Z_EN: 0
; COMPUTE_PGM_RSRC2:TIDIG_COMP_CNT: 0
; COMPUTE_PGM_RSRC3_GFX90A:ACCUM_OFFSET: 0
; COMPUTE_PGM_RSRC3_GFX90A:TG_SPLIT: 0
	.section	.text._ZN9rocsolver6v33100L21larft_kernel_backwardIfPfEEv15rocblas_storev_iiT0_iilPT_lS6_il,"axG",@progbits,_ZN9rocsolver6v33100L21larft_kernel_backwardIfPfEEv15rocblas_storev_iiT0_iilPT_lS6_il,comdat
	.globl	_ZN9rocsolver6v33100L21larft_kernel_backwardIfPfEEv15rocblas_storev_iiT0_iilPT_lS6_il ; -- Begin function _ZN9rocsolver6v33100L21larft_kernel_backwardIfPfEEv15rocblas_storev_iiT0_iilPT_lS6_il
	.p2align	8
	.type	_ZN9rocsolver6v33100L21larft_kernel_backwardIfPfEEv15rocblas_storev_iiT0_iilPT_lS6_il,@function
_ZN9rocsolver6v33100L21larft_kernel_backwardIfPfEEv15rocblas_storev_iiT0_iilPT_lS6_il: ; @_ZN9rocsolver6v33100L21larft_kernel_backwardIfPfEEv15rocblas_storev_iiT0_iilPT_lS6_il
; %bb.0:
	s_load_dword s2, s[4:5], 0x5c
	s_load_dword s33, s[4:5], 0x40
	s_load_dwordx2 s[0:1], s[4:5], 0x48
	s_load_dwordx4 s[16:19], s[4:5], 0x0
	s_load_dwordx8 s[8:15], s[4:5], 0x20
	s_waitcnt lgkmcnt(0)
	s_and_b32 s19, s2, 0xffff
	s_ashr_i32 s6, s7, 31
	s_mul_i32 s1, s7, s1
	s_mul_hi_u32 s2, s7, s0
	s_add_i32 s1, s2, s1
	s_mul_i32 s2, s6, s0
	s_add_i32 s1, s1, s2
	s_mul_i32 s0, s7, s0
	s_lshl_b64 s[0:1], s[0:1], 2
	s_add_u32 s34, s14, s0
	s_addc_u32 s35, s15, s1
	v_cmp_gt_i32_e64 s[0:1], s18, v0
	v_add_u32_e32 v1, 1, v0
	s_and_saveexec_b64 s[14:15], s[0:1]
	s_cbranch_execz .LBB11_12
; %bb.1:
	s_cmp_lg_u32 s33, 1
	s_cselect_b64 s[20:21], -1, 0
	s_cmp_lg_u32 s18, 1
	s_cselect_b64 s[22:23], -1, 0
	s_lshl_b32 s36, s18, 2
	s_add_i32 s2, s36, 0
	v_add_u32_e32 v3, 1, v0
	v_lshl_add_u32 v6, v0, 2, s2
	s_lshl_b32 s37, s19, 2
	s_mov_b64 s[24:25], 0
	v_mov_b32_e32 v2, v0
	s_branch .LBB11_3
.LBB11_2:                               ;   in Loop: Header=BB11_3 Depth=1
	s_or_b64 exec, exec, s[2:3]
	v_add_u32_e32 v2, s19, v2
	v_cmp_le_i32_e32 vcc, s18, v2
	v_add_u32_e32 v3, s19, v3
	s_or_b64 s[24:25], vcc, s[24:25]
	v_add_u32_e32 v6, s37, v6
	s_andn2_b64 exec, exec, s[24:25]
	s_cbranch_execz .LBB11_12
.LBB11_3:                               ; =>This Loop Header: Depth=1
                                        ;     Child Loop BB11_6 Depth 2
                                        ;     Child Loop BB11_11 Depth 2
	v_cmp_gt_u32_e32 vcc, 6, v3
	v_cmp_lt_u32_e64 s[2:3], 5, v3
	v_mov_b32_e32 v7, 0
	s_and_saveexec_b64 s[26:27], s[2:3]
	s_cbranch_execz .LBB11_9
; %bb.4:                                ;   in Loop: Header=BB11_3 Depth=1
	v_lshlrev_b32_e32 v4, 1, v2
	v_cmp_lt_i32_e64 s[2:3], v4, v2
	s_or_b64 s[2:3], s[20:21], s[2:3]
	s_or_b64 s[28:29], s[2:3], s[22:23]
	s_mov_b64 s[2:3], -1
	s_xor_b64 s[30:31], s[28:29], -1
	v_mov_b32_e32 v7, 0
	s_and_saveexec_b64 s[28:29], s[30:31]
	s_cbranch_execz .LBB11_8
; %bb.5:                                ;   in Loop: Header=BB11_3 Depth=1
	v_and_b32_e32 v7, -4, v3
	s_mov_b32 s38, 0
	s_mov_b64 s[30:31], 0
	v_mov_b32_e32 v4, v6
.LBB11_6:                               ;   Parent Loop BB11_3 Depth=1
                                        ; =>  This Inner Loop Header: Depth=2
	v_add_u32_e32 v8, s38, v2
	v_ashrrev_i32_e32 v9, 31, v8
	v_lshlrev_b64 v[8:9], 2, v[8:9]
	v_mov_b32_e32 v5, s35
	v_add_co_u32_e64 v8, s[2:3], s34, v8
	v_addc_co_u32_e64 v9, s[2:3], v5, v9, s[2:3]
	global_load_dwordx4 v[8:11], v[8:9], off
	s_add_i32 s38, s38, 4
	v_cmp_eq_u32_e64 s[2:3], s38, v7
	s_or_b64 s[30:31], s[2:3], s[30:31]
	s_waitcnt vmcnt(0)
	ds_write2_b32 v4, v8, v9 offset1:1
	ds_write2_b32 v4, v10, v11 offset0:2 offset1:3
	v_add_u32_e32 v4, 16, v4
	s_andn2_b64 exec, exec, s[30:31]
	s_cbranch_execnz .LBB11_6
; %bb.7:                                ;   in Loop: Header=BB11_3 Depth=1
	s_or_b64 exec, exec, s[30:31]
	v_cmp_ne_u32_e64 s[2:3], v3, v7
	s_orn2_b64 s[2:3], s[2:3], exec
.LBB11_8:                               ;   in Loop: Header=BB11_3 Depth=1
	s_or_b64 exec, exec, s[28:29]
	s_andn2_b64 s[28:29], vcc, exec
	s_and_b64 s[2:3], s[2:3], exec
	s_or_b64 vcc, s[28:29], s[2:3]
.LBB11_9:                               ;   in Loop: Header=BB11_3 Depth=1
	s_or_b64 exec, exec, s[26:27]
	s_and_saveexec_b64 s[2:3], vcc
	s_cbranch_execz .LBB11_2
; %bb.10:                               ;   in Loop: Header=BB11_3 Depth=1
	v_mad_u64_u32 v[4:5], s[26:27], s33, v7, v[2:3]
	v_mul_lo_u32 v8, s36, v7
	s_mov_b64 s[26:27], 0
.LBB11_11:                              ;   Parent Loop BB11_3 Depth=1
                                        ; =>  This Inner Loop Header: Depth=2
	v_ashrrev_i32_e32 v5, 31, v4
	v_lshlrev_b64 v[10:11], 2, v[4:5]
	v_mov_b32_e32 v9, s35
	v_add_co_u32_e32 v10, vcc, s34, v10
	v_addc_co_u32_e32 v11, vcc, v9, v11, vcc
	global_load_dword v5, v[10:11], off
	v_add_u32_e32 v7, 1, v7
	v_cmp_eq_u32_e32 vcc, v3, v7
	v_add_u32_e32 v9, v6, v8
	v_add_u32_e32 v8, s36, v8
	;; [unrolled: 1-line block ×3, first 2 shown]
	s_or_b64 s[26:27], vcc, s[26:27]
	s_waitcnt vmcnt(0)
	ds_write_b32 v9, v5
	s_andn2_b64 exec, exec, s[26:27]
	s_cbranch_execnz .LBB11_11
	s_branch .LBB11_2
.LBB11_12:
	s_or_b64 exec, exec, s[14:15]
	s_cmp_lt_i32 s18, 2
	s_waitcnt lgkmcnt(0)
	s_barrier
	s_cbranch_scc1 .LBB11_38
; %bb.13:
	s_load_dwordx4 s[20:23], s[4:5], 0x10
	s_mul_i32 s2, s7, s13
	s_mul_hi_u32 s3, s7, s12
	s_add_i32 s4, s3, s2
	s_mul_i32 s5, s6, s12
	s_add_i32 s5, s4, s5
	s_mul_i32 s4, s7, s12
	s_waitcnt lgkmcnt(0)
	s_ashr_i32 s3, s22, 31
	s_lshl_b64 s[4:5], s[4:5], 2
	s_mov_b32 s2, s22
	s_add_u32 s22, s10, s4
	s_addc_u32 s26, s11, s5
	s_lshl_b32 s27, s18, 2
	s_add_i32 s28, s27, 0
	s_add_i32 s4, s18, -2
	s_sub_i32 s29, s17, s18
	s_cmpk_lg_i32 s16, 0xb5
	s_mul_i32 s6, s8, s6
	s_mul_hi_u32 s12, s8, s7
	s_cselect_b64 s[10:11], -1, 0
	s_add_i32 s6, s12, s6
	s_mul_i32 s9, s9, s7
	s_add_i32 s9, s6, s9
	s_mul_i32 s8, s8, s7
	s_lshl_b64 s[6:7], s[8:9], 2
	s_lshl_b64 s[2:3], s[2:3], 2
	s_mov_b32 s5, 0
	s_add_u32 s8, s6, s2
	s_addc_u32 s9, s7, s3
	s_lshl_b64 s[2:3], s[4:5], 2
	s_add_u32 s6, s8, s2
	s_addc_u32 s7, s9, s3
	s_add_u32 s30, s20, s6
	s_addc_u32 s31, s21, s7
	s_ashr_i32 s7, s23, 31
	s_mov_b32 s6, s23
	s_lshl_b64 s[6:7], s[6:7], 2
	s_add_u32 s36, s20, s8
	s_addc_u32 s37, s21, s9
	v_lshlrev_b32_e32 v4, 2, v0
	s_add_u32 s2, s36, s2
	s_addc_u32 s3, s37, s3
	v_add_co_u32_e32 v3, vcc, s2, v4
	s_add_i32 s2, s18, -1
	v_mov_b32_e32 v2, s3
	s_mul_i32 s8, s23, s2
	s_add_i32 s2, s27, 4
	v_addc_co_u32_e32 v5, vcc, 0, v2, vcc
	s_mul_i32 s2, s18, s2
	v_add_co_u32_e32 v2, vcc, 4, v3
	s_add_i32 s2, s2, 0
	v_addc_co_u32_e32 v3, vcc, 0, v5, vcc
	s_lshl_b32 s38, s19, 2
	s_mov_b32 s39, s5
	v_mul_lo_u32 v8, v0, s23
	s_mul_i32 s40, s23, s19
	s_mul_i32 s12, s23, s4
	v_add3_u32 v9, s2, v4, -4
	s_xor_b32 s41, s27, -4
	s_branch .LBB11_15
.LBB11_14:                              ;   in Loop: Header=BB11_15 Depth=1
	s_or_b64 exec, exec, s[2:3]
	s_add_i32 s2, s4, -1
	s_add_u32 s30, s30, -4
	s_addc_u32 s31, s31, -1
	v_add_co_u32_e32 v2, vcc, -4, v2
	s_sub_i32 s8, s8, s23
	s_sub_i32 s12, s12, s23
	v_addc_co_u32_e32 v3, vcc, -1, v3, vcc
	v_add_u32_e32 v9, s41, v9
	s_cmp_lt_i32 s4, 1
	s_mov_b32 s4, s2
	s_waitcnt lgkmcnt(0)
	s_barrier
	s_cbranch_scc1 .LBB11_38
.LBB11_15:                              ; =>This Loop Header: Depth=1
                                        ;     Child Loop BB11_20 Depth 2
                                        ;       Child Loop BB11_22 Depth 3
                                        ;     Child Loop BB11_29 Depth 2
                                        ;       Child Loop BB11_31 Depth 3
	;; [unrolled: 2-line block ×3, first 2 shown]
	s_lshl_b32 s2, s4, 2
	s_not_b32 s42, s4
	s_add_i32 s43, s28, s2
	s_mul_i32 s2, s4, s18
	s_add_i32 s42, s42, s18
	s_lshl_b32 s2, s2, 2
	s_add_i32 s44, s4, s29
	s_add_i32 s43, s43, s2
	s_mov_b64 s[14:15], -1
	s_and_b64 vcc, exec, s[10:11]
	v_cmp_gt_i32_e64 s[2:3], s42, v0
	s_cbranch_vccz .LBB11_24
; %bb.16:                               ;   in Loop: Header=BB11_15 Depth=1
	s_and_saveexec_b64 s[14:15], s[2:3]
	s_cbranch_execz .LBB11_23
; %bb.17:                               ;   in Loop: Header=BB11_15 Depth=1
	s_cmp_gt_i32 s44, 0
	s_cselect_b64 s[2:3], -1, 0
	s_lshl_b64 s[16:17], s[4:5], 2
	s_add_u32 s16, s22, s16
	s_addc_u32 s17, s26, s17
	s_load_dword s9, s[16:17], 0x0
	v_cndmask_b32_e64 v4, 0, 1, s[2:3]
	s_add_i32 s13, s43, 4
	s_mov_b64 s[16:17], 0
	v_cmp_ne_u32_e64 s[2:3], 1, v4
	v_pk_mov_b32 v[4:5], v[2:3], v[2:3] op_sel:[0,1]
	v_mov_b32_e32 v6, v0
	s_branch .LBB11_20
.LBB11_18:                              ;   in Loop: Header=BB11_20 Depth=2
	v_mov_b32_e32 v7, 0
.LBB11_19:                              ;   in Loop: Header=BB11_20 Depth=2
	v_lshlrev_b32_e32 v10, 2, v6
	v_add_u32_e32 v11, s13, v10
	ds_read_b32 v11, v11
	v_add_u32_e32 v6, s19, v6
	v_cmp_le_i32_e32 vcc, s42, v6
	v_mov_b32_e32 v12, s39
	s_or_b64 s[16:17], vcc, s[16:17]
	v_add_co_u32_e32 v4, vcc, s38, v4
	v_add_u32_e32 v10, 0, v10
	s_waitcnt lgkmcnt(0)
	v_fmac_f32_e32 v11, s9, v7
	v_addc_co_u32_e32 v5, vcc, v5, v12, vcc
	ds_write_b32 v10, v11
	s_andn2_b64 exec, exec, s[16:17]
	s_cbranch_execz .LBB11_23
.LBB11_20:                              ;   Parent Loop BB11_15 Depth=1
                                        ; =>  This Loop Header: Depth=2
                                        ;       Child Loop BB11_22 Depth 3
	s_and_b64 vcc, exec, s[2:3]
	s_cbranch_vccnz .LBB11_18
; %bb.21:                               ;   in Loop: Header=BB11_20 Depth=2
	s_mov_b32 s24, 0
	s_mov_b64 s[20:21], 0
	v_mov_b32_e32 v7, 0
.LBB11_22:                              ;   Parent Loop BB11_15 Depth=1
                                        ;     Parent Loop BB11_20 Depth=2
                                        ; =>    This Inner Loop Header: Depth=3
	v_mov_b32_e32 v11, s21
	v_add_co_u32_e32 v10, vcc, s20, v4
	v_addc_co_u32_e32 v11, vcc, v5, v11, vcc
	global_load_dword v10, v[10:11], off
	s_add_u32 s46, s30, s20
	s_addc_u32 s47, s31, s21
	s_load_dword s25, s[46:47], 0x0
	s_add_i32 s24, s24, 1
	s_add_u32 s20, s20, s6
	s_addc_u32 s21, s21, s7
	s_cmp_ge_i32 s24, s44
	s_waitcnt vmcnt(0) lgkmcnt(0)
	v_fmac_f32_e32 v7, s25, v10
	s_cbranch_scc0 .LBB11_22
	s_branch .LBB11_19
.LBB11_23:                              ;   in Loop: Header=BB11_15 Depth=1
	s_or_b64 exec, exec, s[14:15]
	s_mov_b64 s[14:15], 0
.LBB11_24:                              ;   in Loop: Header=BB11_15 Depth=1
	s_andn2_b64 vcc, exec, s[14:15]
	s_cbranch_vccnz .LBB11_33
; %bb.25:                               ;   in Loop: Header=BB11_15 Depth=1
	v_cmp_gt_i32_e32 vcc, s42, v0
	s_and_saveexec_b64 s[2:3], vcc
	s_cbranch_execz .LBB11_32
; %bb.26:                               ;   in Loop: Header=BB11_15 Depth=1
	s_ashr_i32 s9, s8, 31
	s_ashr_i32 s13, s12, 31
	s_lshl_b64 s[20:21], s[8:9], 2
	s_lshl_b64 s[14:15], s[12:13], 2
	s_add_u32 s14, s36, s14
	s_addc_u32 s15, s37, s15
	s_cmp_gt_i32 s44, 0
	s_cselect_b64 s[16:17], -1, 0
	s_lshl_b64 s[24:25], s[4:5], 2
	s_add_u32 s24, s22, s24
	s_addc_u32 s25, s26, s25
	s_load_dword s9, s[24:25], 0x0
	s_add_i32 s13, s43, 4
	s_add_u32 s45, s36, s20
	s_addc_u32 s46, s37, s21
	s_mov_b64 s[20:21], 0
	v_mov_b32_e32 v4, v8
	v_mov_b32_e32 v10, v0
	s_branch .LBB11_29
.LBB11_27:                              ;   in Loop: Header=BB11_29 Depth=2
	v_mov_b32_e32 v5, 0
.LBB11_28:                              ;   in Loop: Header=BB11_29 Depth=2
	v_lshlrev_b32_e32 v6, 2, v10
	v_add_u32_e32 v7, s13, v6
	ds_read_b32 v7, v7
	v_add_u32_e32 v10, s19, v10
	v_cmp_le_i32_e32 vcc, s42, v10
	v_add_u32_e32 v6, 0, v6
	s_or_b64 s[20:21], vcc, s[20:21]
	s_waitcnt lgkmcnt(0)
	v_fmac_f32_e32 v7, s9, v5
	v_add_u32_e32 v4, s40, v4
	ds_write_b32 v6, v7
	s_andn2_b64 exec, exec, s[20:21]
	s_cbranch_execz .LBB11_32
.LBB11_29:                              ;   Parent Loop BB11_15 Depth=1
                                        ; =>  This Loop Header: Depth=2
                                        ;       Child Loop BB11_31 Depth 3
	s_andn2_b64 vcc, exec, s[16:17]
	s_cbranch_vccnz .LBB11_27
; %bb.30:                               ;   in Loop: Header=BB11_29 Depth=2
	v_ashrrev_i32_e32 v5, 31, v4
	v_lshlrev_b64 v[6:7], 2, v[4:5]
	v_mov_b32_e32 v5, s46
	v_add_co_u32_e32 v6, vcc, s45, v6
	v_addc_co_u32_e32 v7, vcc, v5, v7, vcc
	s_mov_b32 s47, 0
	v_mov_b32_e32 v5, 0
	s_mov_b64 s[24:25], s[14:15]
.LBB11_31:                              ;   Parent Loop BB11_15 Depth=1
                                        ;     Parent Loop BB11_29 Depth=2
                                        ; =>    This Inner Loop Header: Depth=3
	global_load_dword v11, v[6:7], off
	s_load_dword s48, s[24:25], 0x0
	s_add_i32 s47, s47, 1
	s_add_u32 s24, s24, 4
	v_add_co_u32_e32 v6, vcc, 4, v6
	s_addc_u32 s25, s25, 0
	v_addc_co_u32_e32 v7, vcc, 0, v7, vcc
	s_cmp_ge_i32 s47, s44
	s_waitcnt vmcnt(0) lgkmcnt(0)
	v_fmac_f32_e32 v5, s48, v11
	s_cbranch_scc0 .LBB11_31
	s_branch .LBB11_28
.LBB11_32:                              ;   in Loop: Header=BB11_15 Depth=1
	s_or_b64 exec, exec, s[2:3]
.LBB11_33:                              ;   in Loop: Header=BB11_15 Depth=1
	v_cmp_gt_i32_e32 vcc, s42, v0
	s_waitcnt lgkmcnt(0)
	s_barrier
	s_and_saveexec_b64 s[2:3], vcc
	s_cbranch_execz .LBB11_14
; %bb.34:                               ;   in Loop: Header=BB11_15 Depth=1
	s_add_i32 s43, s43, 4
	s_mov_b64 s[14:15], 0
	v_mov_b32_e32 v4, v9
	v_mov_b32_e32 v5, v0
.LBB11_35:                              ;   Parent Loop BB11_15 Depth=1
                                        ; =>  This Loop Header: Depth=2
                                        ;       Child Loop BB11_36 Depth 3
	s_mov_b32 s9, -1
	s_mov_b32 s13, 0
	v_mov_b32_e32 v6, 0
	s_mov_b64 s[16:17], 0
	v_mov_b32_e32 v7, v4
.LBB11_36:                              ;   Parent Loop BB11_15 Depth=1
                                        ;     Parent Loop BB11_35 Depth=2
                                        ; =>    This Inner Loop Header: Depth=3
	v_mov_b32_e32 v11, s13
	ds_read_b32 v10, v7
	ds_read_b32 v11, v11
	s_add_i32 s9, s9, 1
	s_add_i32 s13, s13, 4
	v_cmp_eq_u32_e32 vcc, s9, v5
	v_add_u32_e32 v7, s27, v7
	s_or_b64 s[16:17], vcc, s[16:17]
	s_waitcnt lgkmcnt(0)
	v_fmac_f32_e32 v6, v10, v11
	s_andn2_b64 exec, exec, s[16:17]
	s_cbranch_execnz .LBB11_36
; %bb.37:                               ;   in Loop: Header=BB11_35 Depth=2
	s_or_b64 exec, exec, s[16:17]
	v_lshl_add_u32 v7, v5, 2, s43
	v_add_u32_e32 v5, s19, v5
	v_cmp_le_i32_e32 vcc, s42, v5
	s_or_b64 s[14:15], vcc, s[14:15]
	v_add_u32_e32 v4, s38, v4
	ds_write_b32 v7, v6
	s_andn2_b64 exec, exec, s[14:15]
	s_cbranch_execnz .LBB11_35
	s_branch .LBB11_14
.LBB11_38:
	s_and_saveexec_b64 s[2:3], s[0:1]
	s_cbranch_execz .LBB11_50
; %bb.39:
	s_cmp_lg_u32 s18, 1
	s_cselect_b64 s[0:1], -1, 0
	s_cmp_lg_u32 s33, 1
	s_cselect_b64 s[2:3], -1, 0
	s_lshl_b32 s12, s18, 2
	s_or_b64 s[0:1], s[0:1], s[2:3]
	s_add_i32 s2, s12, 0
	v_lshl_add_u32 v4, v0, 2, s2
	s_lshl_b32 s13, s19, 2
	s_mov_b64 s[2:3], 0
	s_xor_b64 s[4:5], s[0:1], -1
	s_branch .LBB11_41
.LBB11_40:                              ;   in Loop: Header=BB11_41 Depth=1
	s_or_b64 exec, exec, s[6:7]
	v_add_u32_e32 v0, s19, v0
	v_cmp_le_i32_e32 vcc, s18, v0
	v_add_u32_e32 v1, s19, v1
	s_or_b64 s[2:3], vcc, s[2:3]
	v_add_u32_e32 v4, s13, v4
	s_andn2_b64 exec, exec, s[2:3]
	s_cbranch_execz .LBB11_50
.LBB11_41:                              ; =>This Loop Header: Depth=1
                                        ;     Child Loop BB11_44 Depth 2
                                        ;     Child Loop BB11_49 Depth 2
	v_cmp_gt_u32_e32 vcc, 6, v1
	v_cmp_lt_u32_e64 s[0:1], 5, v1
	v_mov_b32_e32 v5, 0
	s_and_saveexec_b64 s[6:7], s[0:1]
	s_cbranch_execz .LBB11_47
; %bb.42:                               ;   in Loop: Header=BB11_41 Depth=1
	v_lshlrev_b32_e32 v2, 1, v0
	v_cmp_ge_i32_e64 s[0:1], v2, v0
	s_mov_b64 s[10:11], -1
	s_and_b64 s[0:1], s[4:5], s[0:1]
	v_mov_b32_e32 v5, 0
	s_and_saveexec_b64 s[8:9], s[0:1]
	s_cbranch_execz .LBB11_46
; %bb.43:                               ;   in Loop: Header=BB11_41 Depth=1
	v_and_b32_e32 v5, -4, v1
	s_mov_b32 s14, 0
	s_mov_b64 s[10:11], 0
	v_mov_b32_e32 v2, v4
.LBB11_44:                              ;   Parent Loop BB11_41 Depth=1
                                        ; =>  This Inner Loop Header: Depth=2
	ds_read2_b32 v[6:7], v2 offset1:1
	ds_read2_b32 v[8:9], v2 offset0:2 offset1:3
	v_add_u32_e32 v10, s14, v0
	s_add_i32 s14, s14, 4
	v_ashrrev_i32_e32 v11, 31, v10
	v_cmp_eq_u32_e64 s[0:1], s14, v5
	v_lshlrev_b64 v[10:11], 2, v[10:11]
	v_mov_b32_e32 v3, s35
	s_or_b64 s[10:11], s[0:1], s[10:11]
	v_add_co_u32_e64 v10, s[0:1], s34, v10
	v_add_u32_e32 v2, 16, v2
	v_addc_co_u32_e64 v11, s[0:1], v3, v11, s[0:1]
	s_waitcnt lgkmcnt(0)
	global_store_dwordx4 v[10:11], v[6:9], off
	s_andn2_b64 exec, exec, s[10:11]
	s_cbranch_execnz .LBB11_44
; %bb.45:                               ;   in Loop: Header=BB11_41 Depth=1
	s_or_b64 exec, exec, s[10:11]
	v_cmp_ne_u32_e64 s[0:1], v1, v5
	s_orn2_b64 s[10:11], s[0:1], exec
.LBB11_46:                              ;   in Loop: Header=BB11_41 Depth=1
	s_or_b64 exec, exec, s[8:9]
	s_andn2_b64 s[0:1], vcc, exec
	s_and_b64 s[8:9], s[10:11], exec
	s_or_b64 vcc, s[0:1], s[8:9]
.LBB11_47:                              ;   in Loop: Header=BB11_41 Depth=1
	s_or_b64 exec, exec, s[6:7]
	s_and_saveexec_b64 s[6:7], vcc
	s_cbranch_execz .LBB11_40
; %bb.48:                               ;   in Loop: Header=BB11_41 Depth=1
	v_mad_u64_u32 v[2:3], s[0:1], s33, v5, v[0:1]
	v_mul_lo_u32 v6, s12, v5
	s_mov_b64 s[8:9], 0
.LBB11_49:                              ;   Parent Loop BB11_41 Depth=1
                                        ; =>  This Inner Loop Header: Depth=2
	v_add_u32_e32 v7, v4, v6
	ds_read_b32 v7, v7
	v_ashrrev_i32_e32 v3, 31, v2
	v_add_u32_e32 v5, 1, v5
	v_lshlrev_b64 v[8:9], 2, v[2:3]
	v_mov_b32_e32 v10, s35
	v_cmp_eq_u32_e32 vcc, v1, v5
	v_add_co_u32_e64 v8, s[0:1], s34, v8
	v_add_u32_e32 v6, s12, v6
	v_add_u32_e32 v2, s33, v2
	v_addc_co_u32_e64 v9, s[0:1], v10, v9, s[0:1]
	s_or_b64 s[8:9], vcc, s[8:9]
	s_waitcnt lgkmcnt(0)
	global_store_dword v[8:9], v7, off
	s_andn2_b64 exec, exec, s[8:9]
	s_cbranch_execnz .LBB11_49
	s_branch .LBB11_40
.LBB11_50:
	s_endpgm
	.section	.rodata,"a",@progbits
	.p2align	6, 0x0
	.amdhsa_kernel _ZN9rocsolver6v33100L21larft_kernel_backwardIfPfEEv15rocblas_storev_iiT0_iilPT_lS6_il
		.amdhsa_group_segment_fixed_size 0
		.amdhsa_private_segment_fixed_size 0
		.amdhsa_kernarg_size 336
		.amdhsa_user_sgpr_count 6
		.amdhsa_user_sgpr_private_segment_buffer 1
		.amdhsa_user_sgpr_dispatch_ptr 0
		.amdhsa_user_sgpr_queue_ptr 0
		.amdhsa_user_sgpr_kernarg_segment_ptr 1
		.amdhsa_user_sgpr_dispatch_id 0
		.amdhsa_user_sgpr_flat_scratch_init 0
		.amdhsa_user_sgpr_kernarg_preload_length 0
		.amdhsa_user_sgpr_kernarg_preload_offset 0
		.amdhsa_user_sgpr_private_segment_size 0
		.amdhsa_uses_dynamic_stack 0
		.amdhsa_system_sgpr_private_segment_wavefront_offset 0
		.amdhsa_system_sgpr_workgroup_id_x 1
		.amdhsa_system_sgpr_workgroup_id_y 1
		.amdhsa_system_sgpr_workgroup_id_z 0
		.amdhsa_system_sgpr_workgroup_info 0
		.amdhsa_system_vgpr_workitem_id 0
		.amdhsa_next_free_vgpr 13
		.amdhsa_next_free_sgpr 49
		.amdhsa_accum_offset 16
		.amdhsa_reserve_vcc 1
		.amdhsa_reserve_flat_scratch 0
		.amdhsa_float_round_mode_32 0
		.amdhsa_float_round_mode_16_64 0
		.amdhsa_float_denorm_mode_32 3
		.amdhsa_float_denorm_mode_16_64 3
		.amdhsa_dx10_clamp 1
		.amdhsa_ieee_mode 1
		.amdhsa_fp16_overflow 0
		.amdhsa_tg_split 0
		.amdhsa_exception_fp_ieee_invalid_op 0
		.amdhsa_exception_fp_denorm_src 0
		.amdhsa_exception_fp_ieee_div_zero 0
		.amdhsa_exception_fp_ieee_overflow 0
		.amdhsa_exception_fp_ieee_underflow 0
		.amdhsa_exception_fp_ieee_inexact 0
		.amdhsa_exception_int_div_zero 0
	.end_amdhsa_kernel
	.section	.text._ZN9rocsolver6v33100L21larft_kernel_backwardIfPfEEv15rocblas_storev_iiT0_iilPT_lS6_il,"axG",@progbits,_ZN9rocsolver6v33100L21larft_kernel_backwardIfPfEEv15rocblas_storev_iiT0_iilPT_lS6_il,comdat
.Lfunc_end11:
	.size	_ZN9rocsolver6v33100L21larft_kernel_backwardIfPfEEv15rocblas_storev_iiT0_iilPT_lS6_il, .Lfunc_end11-_ZN9rocsolver6v33100L21larft_kernel_backwardIfPfEEv15rocblas_storev_iiT0_iilPT_lS6_il
                                        ; -- End function
	.section	.AMDGPU.csdata,"",@progbits
; Kernel info:
; codeLenInByte = 1980
; NumSgprs: 53
; NumVgprs: 13
; NumAgprs: 0
; TotalNumVgprs: 13
; ScratchSize: 0
; MemoryBound: 0
; FloatMode: 240
; IeeeMode: 1
; LDSByteSize: 0 bytes/workgroup (compile time only)
; SGPRBlocks: 6
; VGPRBlocks: 1
; NumSGPRsForWavesPerEU: 53
; NumVGPRsForWavesPerEU: 13
; AccumOffset: 16
; Occupancy: 8
; WaveLimiterHint : 0
; COMPUTE_PGM_RSRC2:SCRATCH_EN: 0
; COMPUTE_PGM_RSRC2:USER_SGPR: 6
; COMPUTE_PGM_RSRC2:TRAP_HANDLER: 0
; COMPUTE_PGM_RSRC2:TGID_X_EN: 1
; COMPUTE_PGM_RSRC2:TGID_Y_EN: 1
; COMPUTE_PGM_RSRC2:TGID_Z_EN: 0
; COMPUTE_PGM_RSRC2:TIDIG_COMP_CNT: 0
; COMPUTE_PGM_RSRC3_GFX90A:ACCUM_OFFSET: 3
; COMPUTE_PGM_RSRC3_GFX90A:TG_SPLIT: 0
	.section	.text._ZN9rocsolver6v33100L9copymatA1IfPfEEviiT0_iilPT_,"axG",@progbits,_ZN9rocsolver6v33100L9copymatA1IfPfEEviiT0_iilPT_,comdat
	.globl	_ZN9rocsolver6v33100L9copymatA1IfPfEEviiT0_iilPT_ ; -- Begin function _ZN9rocsolver6v33100L9copymatA1IfPfEEviiT0_iilPT_
	.p2align	8
	.type	_ZN9rocsolver6v33100L9copymatA1IfPfEEviiT0_iilPT_,@function
_ZN9rocsolver6v33100L9copymatA1IfPfEEviiT0_iilPT_: ; @_ZN9rocsolver6v33100L9copymatA1IfPfEEviiT0_iilPT_
; %bb.0:
	s_load_dword s0, s[4:5], 0x34
	s_load_dwordx2 s[2:3], s[4:5], 0x0
	v_and_b32_e32 v1, 0x3ff, v0
	v_bfe_u32 v0, v0, 10, 10
	s_waitcnt lgkmcnt(0)
	s_lshr_b32 s1, s0, 16
	s_and_b32 s0, s0, 0xffff
	s_mul_i32 s6, s6, s0
	s_mul_i32 s7, s7, s1
	v_add_u32_e32 v1, s6, v1
	v_add_u32_e32 v0, s7, v0
	v_cmp_gt_u32_e32 vcc, s2, v0
	v_cmp_gt_u32_e64 s[0:1], s3, v1
	s_and_b64 s[0:1], s[0:1], vcc
	s_and_saveexec_b64 s[6:7], s[0:1]
	s_cbranch_execz .LBB12_2
; %bb.1:
	s_ashr_i32 s0, s2, 31
	s_load_dwordx8 s[12:19], s[4:5], 0x8
	s_mul_hi_u32 s4, s2, s8
	s_mul_i32 s0, s0, s8
	s_ashr_i32 s1, s3, 31
	s_add_i32 s0, s4, s0
	s_mul_i32 s4, s2, s8
	s_mul_i32 s1, s4, s1
	s_mul_hi_u32 s5, s4, s3
	s_add_i32 s1, s5, s1
	s_mul_i32 s0, s0, s3
	s_add_i32 s1, s1, s0
	s_mul_i32 s0, s4, s3
	s_lshl_b64 s[0:1], s[0:1], 2
	s_waitcnt lgkmcnt(0)
	s_add_u32 s3, s18, s0
	s_mul_i32 s4, s8, s17
	s_mul_hi_u32 s5, s8, s16
	s_addc_u32 s6, s19, s1
	s_add_i32 s5, s5, s4
	s_mul_i32 s4, s8, s16
	s_ashr_i32 s1, s14, 31
	s_lshl_b64 s[4:5], s[4:5], 2
	s_mov_b32 s0, s14
	s_add_u32 s4, s12, s4
	s_addc_u32 s5, s13, s5
	s_lshl_b64 s[0:1], s[0:1], 2
	s_add_u32 s4, s4, s0
	s_addc_u32 s5, s5, s1
	v_mad_u64_u32 v[2:3], s[0:1], v1, s15, v[0:1]
	v_mov_b32_e32 v3, 0
	v_lshlrev_b64 v[4:5], 2, v[2:3]
	v_mov_b32_e32 v2, s5
	v_add_co_u32_e32 v4, vcc, s4, v4
	v_addc_co_u32_e32 v5, vcc, v2, v5, vcc
	global_load_dword v2, v[4:5], off
	v_mad_u64_u32 v[0:1], s[0:1], v1, s2, v[0:1]
	v_mov_b32_e32 v1, v3
	v_lshlrev_b64 v[0:1], 2, v[0:1]
	v_mov_b32_e32 v3, s6
	v_add_co_u32_e32 v0, vcc, s3, v0
	v_addc_co_u32_e32 v1, vcc, v3, v1, vcc
	s_waitcnt vmcnt(0)
	global_store_dword v[0:1], v2, off
.LBB12_2:
	s_endpgm
	.section	.rodata,"a",@progbits
	.p2align	6, 0x0
	.amdhsa_kernel _ZN9rocsolver6v33100L9copymatA1IfPfEEviiT0_iilPT_
		.amdhsa_group_segment_fixed_size 0
		.amdhsa_private_segment_fixed_size 0
		.amdhsa_kernarg_size 296
		.amdhsa_user_sgpr_count 6
		.amdhsa_user_sgpr_private_segment_buffer 1
		.amdhsa_user_sgpr_dispatch_ptr 0
		.amdhsa_user_sgpr_queue_ptr 0
		.amdhsa_user_sgpr_kernarg_segment_ptr 1
		.amdhsa_user_sgpr_dispatch_id 0
		.amdhsa_user_sgpr_flat_scratch_init 0
		.amdhsa_user_sgpr_kernarg_preload_length 0
		.amdhsa_user_sgpr_kernarg_preload_offset 0
		.amdhsa_user_sgpr_private_segment_size 0
		.amdhsa_uses_dynamic_stack 0
		.amdhsa_system_sgpr_private_segment_wavefront_offset 0
		.amdhsa_system_sgpr_workgroup_id_x 1
		.amdhsa_system_sgpr_workgroup_id_y 1
		.amdhsa_system_sgpr_workgroup_id_z 1
		.amdhsa_system_sgpr_workgroup_info 0
		.amdhsa_system_vgpr_workitem_id 1
		.amdhsa_next_free_vgpr 6
		.amdhsa_next_free_sgpr 20
		.amdhsa_accum_offset 8
		.amdhsa_reserve_vcc 1
		.amdhsa_reserve_flat_scratch 0
		.amdhsa_float_round_mode_32 0
		.amdhsa_float_round_mode_16_64 0
		.amdhsa_float_denorm_mode_32 3
		.amdhsa_float_denorm_mode_16_64 3
		.amdhsa_dx10_clamp 1
		.amdhsa_ieee_mode 1
		.amdhsa_fp16_overflow 0
		.amdhsa_tg_split 0
		.amdhsa_exception_fp_ieee_invalid_op 0
		.amdhsa_exception_fp_denorm_src 0
		.amdhsa_exception_fp_ieee_div_zero 0
		.amdhsa_exception_fp_ieee_overflow 0
		.amdhsa_exception_fp_ieee_underflow 0
		.amdhsa_exception_fp_ieee_inexact 0
		.amdhsa_exception_int_div_zero 0
	.end_amdhsa_kernel
	.section	.text._ZN9rocsolver6v33100L9copymatA1IfPfEEviiT0_iilPT_,"axG",@progbits,_ZN9rocsolver6v33100L9copymatA1IfPfEEviiT0_iilPT_,comdat
.Lfunc_end12:
	.size	_ZN9rocsolver6v33100L9copymatA1IfPfEEviiT0_iilPT_, .Lfunc_end12-_ZN9rocsolver6v33100L9copymatA1IfPfEEviiT0_iilPT_
                                        ; -- End function
	.section	.AMDGPU.csdata,"",@progbits
; Kernel info:
; codeLenInByte = 296
; NumSgprs: 24
; NumVgprs: 6
; NumAgprs: 0
; TotalNumVgprs: 6
; ScratchSize: 0
; MemoryBound: 0
; FloatMode: 240
; IeeeMode: 1
; LDSByteSize: 0 bytes/workgroup (compile time only)
; SGPRBlocks: 2
; VGPRBlocks: 0
; NumSGPRsForWavesPerEU: 24
; NumVGPRsForWavesPerEU: 6
; AccumOffset: 8
; Occupancy: 8
; WaveLimiterHint : 0
; COMPUTE_PGM_RSRC2:SCRATCH_EN: 0
; COMPUTE_PGM_RSRC2:USER_SGPR: 6
; COMPUTE_PGM_RSRC2:TRAP_HANDLER: 0
; COMPUTE_PGM_RSRC2:TGID_X_EN: 1
; COMPUTE_PGM_RSRC2:TGID_Y_EN: 1
; COMPUTE_PGM_RSRC2:TGID_Z_EN: 1
; COMPUTE_PGM_RSRC2:TIDIG_COMP_CNT: 1
; COMPUTE_PGM_RSRC3_GFX90A:ACCUM_OFFSET: 1
; COMPUTE_PGM_RSRC3_GFX90A:TG_SPLIT: 0
	.section	.text._ZN9rocsolver6v33100L8addmatA1IfPfEEviiT0_iilPT_,"axG",@progbits,_ZN9rocsolver6v33100L8addmatA1IfPfEEviiT0_iilPT_,comdat
	.globl	_ZN9rocsolver6v33100L8addmatA1IfPfEEviiT0_iilPT_ ; -- Begin function _ZN9rocsolver6v33100L8addmatA1IfPfEEviiT0_iilPT_
	.p2align	8
	.type	_ZN9rocsolver6v33100L8addmatA1IfPfEEviiT0_iilPT_,@function
_ZN9rocsolver6v33100L8addmatA1IfPfEEviiT0_iilPT_: ; @_ZN9rocsolver6v33100L8addmatA1IfPfEEviiT0_iilPT_
; %bb.0:
	s_load_dword s0, s[4:5], 0x34
	s_load_dwordx2 s[10:11], s[4:5], 0x0
	v_and_b32_e32 v1, 0x3ff, v0
	v_bfe_u32 v0, v0, 10, 10
	s_waitcnt lgkmcnt(0)
	s_lshr_b32 s1, s0, 16
	s_and_b32 s0, s0, 0xffff
	s_mul_i32 s6, s6, s0
	s_mul_i32 s7, s7, s1
	v_add_u32_e32 v1, s6, v1
	v_add_u32_e32 v0, s7, v0
	v_cmp_gt_u32_e32 vcc, s10, v0
	v_cmp_gt_u32_e64 s[0:1], s11, v1
	s_and_b64 s[0:1], s[0:1], vcc
	s_and_saveexec_b64 s[2:3], s[0:1]
	s_cbranch_execz .LBB13_2
; %bb.1:
	s_ashr_i32 s9, s10, 31
	s_load_dwordx8 s[0:7], s[4:5], 0x8
	s_ashr_i32 s12, s11, 31
	s_mul_hi_u32 s13, s10, s8
	s_mul_i32 s9, s9, s8
	s_mul_i32 s14, s10, s8
	s_add_i32 s9, s13, s9
	s_mul_i32 s12, s14, s12
	s_mul_hi_u32 s13, s14, s11
	s_add_i32 s12, s13, s12
	s_mul_i32 s9, s9, s11
	s_add_i32 s13, s12, s9
	s_mul_i32 s12, s14, s11
	s_lshl_b64 s[12:13], s[12:13], 2
	s_waitcnt lgkmcnt(0)
	s_add_u32 s9, s6, s12
	s_addc_u32 s11, s7, s13
	s_ashr_i32 s7, s2, 31
	s_mov_b32 s6, s2
	s_mul_i32 s2, s8, s5
	s_mul_hi_u32 s5, s8, s4
	s_add_i32 s5, s5, s2
	s_mul_i32 s4, s8, s4
	s_lshl_b64 s[4:5], s[4:5], 2
	s_add_u32 s2, s0, s4
	s_addc_u32 s4, s1, s5
	s_lshl_b64 s[0:1], s[6:7], 2
	s_add_u32 s2, s2, s0
	s_addc_u32 s4, s4, s1
	v_mad_u64_u32 v[2:3], s[0:1], v1, s10, v[0:1]
	v_mov_b32_e32 v3, 0
	v_lshlrev_b64 v[4:5], 2, v[2:3]
	v_mad_u64_u32 v[0:1], s[0:1], v1, s3, v[0:1]
	v_mov_b32_e32 v2, s11
	v_add_co_u32_e32 v4, vcc, s9, v4
	v_mov_b32_e32 v1, v3
	v_addc_co_u32_e32 v5, vcc, v2, v5, vcc
	v_lshlrev_b64 v[0:1], 2, v[0:1]
	v_mov_b32_e32 v3, s4
	v_add_co_u32_e32 v0, vcc, s2, v0
	v_addc_co_u32_e32 v1, vcc, v3, v1, vcc
	global_load_dword v2, v[4:5], off
	global_load_dword v3, v[0:1], off
	s_waitcnt vmcnt(0)
	v_sub_f32_e32 v2, v3, v2
	global_store_dword v[0:1], v2, off
.LBB13_2:
	s_endpgm
	.section	.rodata,"a",@progbits
	.p2align	6, 0x0
	.amdhsa_kernel _ZN9rocsolver6v33100L8addmatA1IfPfEEviiT0_iilPT_
		.amdhsa_group_segment_fixed_size 0
		.amdhsa_private_segment_fixed_size 0
		.amdhsa_kernarg_size 296
		.amdhsa_user_sgpr_count 6
		.amdhsa_user_sgpr_private_segment_buffer 1
		.amdhsa_user_sgpr_dispatch_ptr 0
		.amdhsa_user_sgpr_queue_ptr 0
		.amdhsa_user_sgpr_kernarg_segment_ptr 1
		.amdhsa_user_sgpr_dispatch_id 0
		.amdhsa_user_sgpr_flat_scratch_init 0
		.amdhsa_user_sgpr_kernarg_preload_length 0
		.amdhsa_user_sgpr_kernarg_preload_offset 0
		.amdhsa_user_sgpr_private_segment_size 0
		.amdhsa_uses_dynamic_stack 0
		.amdhsa_system_sgpr_private_segment_wavefront_offset 0
		.amdhsa_system_sgpr_workgroup_id_x 1
		.amdhsa_system_sgpr_workgroup_id_y 1
		.amdhsa_system_sgpr_workgroup_id_z 1
		.amdhsa_system_sgpr_workgroup_info 0
		.amdhsa_system_vgpr_workitem_id 1
		.amdhsa_next_free_vgpr 6
		.amdhsa_next_free_sgpr 15
		.amdhsa_accum_offset 8
		.amdhsa_reserve_vcc 1
		.amdhsa_reserve_flat_scratch 0
		.amdhsa_float_round_mode_32 0
		.amdhsa_float_round_mode_16_64 0
		.amdhsa_float_denorm_mode_32 3
		.amdhsa_float_denorm_mode_16_64 3
		.amdhsa_dx10_clamp 1
		.amdhsa_ieee_mode 1
		.amdhsa_fp16_overflow 0
		.amdhsa_tg_split 0
		.amdhsa_exception_fp_ieee_invalid_op 0
		.amdhsa_exception_fp_denorm_src 0
		.amdhsa_exception_fp_ieee_div_zero 0
		.amdhsa_exception_fp_ieee_overflow 0
		.amdhsa_exception_fp_ieee_underflow 0
		.amdhsa_exception_fp_ieee_inexact 0
		.amdhsa_exception_int_div_zero 0
	.end_amdhsa_kernel
	.section	.text._ZN9rocsolver6v33100L8addmatA1IfPfEEviiT0_iilPT_,"axG",@progbits,_ZN9rocsolver6v33100L8addmatA1IfPfEEviiT0_iilPT_,comdat
.Lfunc_end13:
	.size	_ZN9rocsolver6v33100L8addmatA1IfPfEEviiT0_iilPT_, .Lfunc_end13-_ZN9rocsolver6v33100L8addmatA1IfPfEEviiT0_iilPT_
                                        ; -- End function
	.section	.AMDGPU.csdata,"",@progbits
; Kernel info:
; codeLenInByte = 308
; NumSgprs: 19
; NumVgprs: 6
; NumAgprs: 0
; TotalNumVgprs: 6
; ScratchSize: 0
; MemoryBound: 0
; FloatMode: 240
; IeeeMode: 1
; LDSByteSize: 0 bytes/workgroup (compile time only)
; SGPRBlocks: 2
; VGPRBlocks: 0
; NumSGPRsForWavesPerEU: 19
; NumVGPRsForWavesPerEU: 6
; AccumOffset: 8
; Occupancy: 8
; WaveLimiterHint : 0
; COMPUTE_PGM_RSRC2:SCRATCH_EN: 0
; COMPUTE_PGM_RSRC2:USER_SGPR: 6
; COMPUTE_PGM_RSRC2:TRAP_HANDLER: 0
; COMPUTE_PGM_RSRC2:TGID_X_EN: 1
; COMPUTE_PGM_RSRC2:TGID_Y_EN: 1
; COMPUTE_PGM_RSRC2:TGID_Z_EN: 1
; COMPUTE_PGM_RSRC2:TIDIG_COMP_CNT: 1
; COMPUTE_PGM_RSRC3_GFX90A:ACCUM_OFFSET: 1
; COMPUTE_PGM_RSRC3_GFX90A:TG_SPLIT: 0
	.section	.text._ZN9rocsolver6v33100L15copyshift_rightIfPfEEvbiT0_iilPT_iil,"axG",@progbits,_ZN9rocsolver6v33100L15copyshift_rightIfPfEEvbiT0_iilPT_iil,comdat
	.globl	_ZN9rocsolver6v33100L15copyshift_rightIfPfEEvbiT0_iilPT_iil ; -- Begin function _ZN9rocsolver6v33100L15copyshift_rightIfPfEEvbiT0_iilPT_iil
	.p2align	8
	.type	_ZN9rocsolver6v33100L15copyshift_rightIfPfEEvbiT0_iilPT_iil,@function
_ZN9rocsolver6v33100L15copyshift_rightIfPfEEvbiT0_iilPT_iil: ; @_ZN9rocsolver6v33100L15copyshift_rightIfPfEEvbiT0_iilPT_iil
; %bb.0:
	s_load_dwordx4 s[12:15], s[4:5], 0x0
	s_load_dwordx4 s[0:3], s[4:5], 0x18
	s_load_dword s9, s[4:5], 0x44
	s_load_dwordx2 s[16:17], s[4:5], 0x10
	v_and_b32_e32 v1, 0x3ff, v0
	s_waitcnt lgkmcnt(0)
	s_bitcmp1_b32 s12, 0
	s_cselect_b64 s[10:11], -1, 0
	s_xor_b64 s[18:19], s[10:11], -1
	s_and_b32 s10, s9, 0xffff
	s_lshr_b32 s9, s9, 16
	s_mul_i32 s7, s7, s9
	s_mul_i32 s1, s8, s1
	s_mul_hi_u32 s9, s8, s0
	v_bfe_u32 v0, v0, 10, 10
	s_add_i32 s1, s9, s1
	s_mul_i32 s0, s8, s0
	s_mul_i32 s6, s6, s10
	v_add_u32_e32 v0, s7, v0
	s_ashr_i32 s7, s16, 31
	s_lshl_b64 s[0:1], s[0:1], 2
	v_add_u32_e32 v2, s6, v1
	s_mov_b32 s6, s16
	s_add_u32 s9, s14, s0
	s_addc_u32 s11, s15, s1
	s_lshl_b64 s[0:1], s[6:7], 2
	v_or_b32_e32 v1, v2, v0
	s_add_u32 s10, s9, s0
	v_cmp_eq_u32_e32 vcc, 0, v1
	s_addc_u32 s11, s11, s1
	s_and_b64 s[6:7], vcc, s[18:19]
	s_and_saveexec_b64 s[0:1], s[6:7]
	s_cbranch_execz .LBB14_2
; %bb.1:
	v_mov_b32_e32 v1, 0
	v_mov_b32_e32 v3, 1.0
	global_store_dword v1, v3, s[10:11]
.LBB14_2:
	s_or_b64 exec, exec, s[0:1]
	v_max_u32_e32 v1, v0, v2
	v_cmp_gt_u32_e32 vcc, s13, v1
	v_cmp_le_u32_e64 s[0:1], v0, v2
	s_and_b64 s[0:1], s[0:1], vcc
	s_and_saveexec_b64 s[6:7], s[0:1]
	s_cbranch_execz .LBB14_13
; %bb.3:
	s_load_dwordx4 s[4:7], s[4:5], 0x28
	s_waitcnt lgkmcnt(0)
	s_ashr_i32 s1, s4, 31
	s_mov_b32 s0, s4
	s_mul_i32 s4, s8, s7
	s_mul_hi_u32 s7, s8, s6
	s_mul_i32 s6, s8, s6
	s_add_i32 s7, s7, s4
	s_lshl_b64 s[6:7], s[6:7], 2
	s_add_u32 s2, s2, s6
	s_addc_u32 s3, s3, s7
	s_lshl_b64 s[0:1], s[0:1], 2
	s_add_u32 s2, s2, s0
	s_addc_u32 s3, s3, s1
	v_mad_u64_u32 v[4:5], s[0:1], v0, v0, v[0:1]
	v_lshrrev_b32_e32 v1, 1, v4
	s_and_b64 vcc, exec, s[18:19]
	s_cbranch_vccz .LBB14_7
; %bb.4:
	v_mad_u64_u32 v[4:5], s[0:1], v0, s5, v[2:3]
	v_sub_u32_e32 v4, v4, v1
	v_mov_b32_e32 v5, 0
	v_lshlrev_b64 v[6:7], 2, v[4:5]
	v_mov_b32_e32 v3, s3
	v_add_co_u32_e32 v6, vcc, s2, v6
	v_addc_co_u32_e32 v7, vcc, v3, v7, vcc
	global_load_dword v6, v[6:7], off
	v_mul_lo_u32 v3, v0, s17
	v_add3_u32 v4, v2, v3, 1
	v_lshlrev_b64 v[4:5], 2, v[4:5]
	v_mov_b32_e32 v7, s11
	v_add_co_u32_e64 v4, s[0:1], s10, v4
	v_addc_co_u32_e64 v5, s[0:1], v7, v5, s[0:1]
	s_mov_b32 s4, 0
	v_cmp_eq_u32_e32 vcc, v2, v0
	s_mov_b64 s[6:7], 0
	s_mov_b64 s[0:1], 0
	s_waitcnt vmcnt(0)
	global_store_dword v[4:5], v6, off
                                        ; implicit-def: $vgpr4
	s_and_saveexec_b64 s[8:9], vcc
	s_xor_b64 s[8:9], exec, s[8:9]
; %bb.5:
	s_mov_b64 s[0:1], exec
	v_add_u32_e32 v4, s17, v3
; %bb.6:
	s_or_b64 exec, exec, s[8:9]
	s_and_b64 vcc, exec, s[6:7]
	v_mov_b32_e32 v3, s4
	s_cbranch_vccnz .LBB14_8
	s_branch .LBB14_11
.LBB14_7:
	s_mov_b64 s[0:1], 0
                                        ; implicit-def: $sgpr4
                                        ; implicit-def: $vgpr4
	v_mov_b32_e32 v3, s4
	s_cbranch_execz .LBB14_11
.LBB14_8:
	v_cmp_ne_u32_e32 vcc, 0, v0
	v_mov_b32_e32 v3, 0
	s_and_saveexec_b64 s[0:1], vcc
	s_cbranch_execz .LBB14_10
; %bb.9:
	v_add_u32_e32 v3, -1, v0
	v_mul_lo_u32 v3, v3, s17
	v_add3_u32 v4, v2, v3, 1
	v_mov_b32_e32 v5, 0
	v_lshlrev_b64 v[4:5], 2, v[4:5]
	v_mov_b32_e32 v3, s11
	v_add_co_u32_e32 v4, vcc, s10, v4
	v_addc_co_u32_e32 v5, vcc, v3, v5, vcc
	global_load_dword v3, v[4:5], off
.LBB14_10:
	s_or_b64 exec, exec, s[0:1]
	s_waitcnt vmcnt(0)
	v_mad_u64_u32 v[4:5], s[0:1], v0, s5, v[2:3]
	v_sub_u32_e32 v4, v4, v1
	s_mov_b64 s[0:1], -1
	s_mov_b64 s[10:11], s[2:3]
.LBB14_11:
	s_and_b64 exec, exec, s[0:1]
	s_cbranch_execz .LBB14_13
; %bb.12:
	v_mov_b32_e32 v5, 0
	v_lshlrev_b64 v[0:1], 2, v[4:5]
	v_mov_b32_e32 v2, s11
	v_add_co_u32_e32 v0, vcc, s10, v0
	v_addc_co_u32_e32 v1, vcc, v2, v1, vcc
	global_store_dword v[0:1], v3, off
.LBB14_13:
	s_endpgm
	.section	.rodata,"a",@progbits
	.p2align	6, 0x0
	.amdhsa_kernel _ZN9rocsolver6v33100L15copyshift_rightIfPfEEvbiT0_iilPT_iil
		.amdhsa_group_segment_fixed_size 0
		.amdhsa_private_segment_fixed_size 0
		.amdhsa_kernarg_size 312
		.amdhsa_user_sgpr_count 6
		.amdhsa_user_sgpr_private_segment_buffer 1
		.amdhsa_user_sgpr_dispatch_ptr 0
		.amdhsa_user_sgpr_queue_ptr 0
		.amdhsa_user_sgpr_kernarg_segment_ptr 1
		.amdhsa_user_sgpr_dispatch_id 0
		.amdhsa_user_sgpr_flat_scratch_init 0
		.amdhsa_user_sgpr_kernarg_preload_length 0
		.amdhsa_user_sgpr_kernarg_preload_offset 0
		.amdhsa_user_sgpr_private_segment_size 0
		.amdhsa_uses_dynamic_stack 0
		.amdhsa_system_sgpr_private_segment_wavefront_offset 0
		.amdhsa_system_sgpr_workgroup_id_x 1
		.amdhsa_system_sgpr_workgroup_id_y 1
		.amdhsa_system_sgpr_workgroup_id_z 1
		.amdhsa_system_sgpr_workgroup_info 0
		.amdhsa_system_vgpr_workitem_id 1
		.amdhsa_next_free_vgpr 8
		.amdhsa_next_free_sgpr 20
		.amdhsa_accum_offset 8
		.amdhsa_reserve_vcc 1
		.amdhsa_reserve_flat_scratch 0
		.amdhsa_float_round_mode_32 0
		.amdhsa_float_round_mode_16_64 0
		.amdhsa_float_denorm_mode_32 3
		.amdhsa_float_denorm_mode_16_64 3
		.amdhsa_dx10_clamp 1
		.amdhsa_ieee_mode 1
		.amdhsa_fp16_overflow 0
		.amdhsa_tg_split 0
		.amdhsa_exception_fp_ieee_invalid_op 0
		.amdhsa_exception_fp_denorm_src 0
		.amdhsa_exception_fp_ieee_div_zero 0
		.amdhsa_exception_fp_ieee_overflow 0
		.amdhsa_exception_fp_ieee_underflow 0
		.amdhsa_exception_fp_ieee_inexact 0
		.amdhsa_exception_int_div_zero 0
	.end_amdhsa_kernel
	.section	.text._ZN9rocsolver6v33100L15copyshift_rightIfPfEEvbiT0_iilPT_iil,"axG",@progbits,_ZN9rocsolver6v33100L15copyshift_rightIfPfEEvbiT0_iilPT_iil,comdat
.Lfunc_end14:
	.size	_ZN9rocsolver6v33100L15copyshift_rightIfPfEEvbiT0_iilPT_iil, .Lfunc_end14-_ZN9rocsolver6v33100L15copyshift_rightIfPfEEvbiT0_iilPT_iil
                                        ; -- End function
	.section	.AMDGPU.csdata,"",@progbits
; Kernel info:
; codeLenInByte = 592
; NumSgprs: 24
; NumVgprs: 8
; NumAgprs: 0
; TotalNumVgprs: 8
; ScratchSize: 0
; MemoryBound: 0
; FloatMode: 240
; IeeeMode: 1
; LDSByteSize: 0 bytes/workgroup (compile time only)
; SGPRBlocks: 2
; VGPRBlocks: 0
; NumSGPRsForWavesPerEU: 24
; NumVGPRsForWavesPerEU: 8
; AccumOffset: 8
; Occupancy: 8
; WaveLimiterHint : 0
; COMPUTE_PGM_RSRC2:SCRATCH_EN: 0
; COMPUTE_PGM_RSRC2:USER_SGPR: 6
; COMPUTE_PGM_RSRC2:TRAP_HANDLER: 0
; COMPUTE_PGM_RSRC2:TGID_X_EN: 1
; COMPUTE_PGM_RSRC2:TGID_Y_EN: 1
; COMPUTE_PGM_RSRC2:TGID_Z_EN: 1
; COMPUTE_PGM_RSRC2:TIDIG_COMP_CNT: 1
; COMPUTE_PGM_RSRC3_GFX90A:ACCUM_OFFSET: 1
; COMPUTE_PGM_RSRC3_GFX90A:TG_SPLIT: 0
	.section	.text._ZN9rocsolver6v33100L16orgl2_init_identIfPfEEviiiT0_iil,"axG",@progbits,_ZN9rocsolver6v33100L16orgl2_init_identIfPfEEviiiT0_iil,comdat
	.globl	_ZN9rocsolver6v33100L16orgl2_init_identIfPfEEviiiT0_iil ; -- Begin function _ZN9rocsolver6v33100L16orgl2_init_identIfPfEEviiiT0_iil
	.p2align	8
	.type	_ZN9rocsolver6v33100L16orgl2_init_identIfPfEEviiiT0_iil,@function
_ZN9rocsolver6v33100L16orgl2_init_identIfPfEEviiiT0_iil: ; @_ZN9rocsolver6v33100L16orgl2_init_identIfPfEEviiiT0_iil
; %bb.0:
	s_load_dword s9, s[4:5], 0x34
	s_load_dwordx4 s[0:3], s[4:5], 0x0
	v_bfe_u32 v1, v0, 10, 10
	v_and_b32_e32 v0, 0x3ff, v0
	s_waitcnt lgkmcnt(0)
	s_lshr_b32 s3, s9, 16
	s_and_b32 s9, s9, 0xffff
	s_mul_i32 s7, s7, s3
	s_mul_i32 s6, s6, s9
	v_add_u32_e32 v2, s7, v1
	v_add_u32_e32 v4, s6, v0
	v_cmp_gt_u32_e32 vcc, s0, v4
	v_cmp_gt_u32_e64 s[0:1], s1, v2
	s_and_b64 s[0:1], vcc, s[0:1]
	s_and_saveexec_b64 s[6:7], s[0:1]
	s_cbranch_execz .LBB15_5
; %bb.1:
	s_load_dwordx2 s[0:1], s[4:5], 0x18
	v_cmp_ne_u32_e32 vcc, v4, v2
	s_mov_b64 s[10:11], 0
                                        ; implicit-def: $vgpr3
                                        ; implicit-def: $vgpr0
	s_and_saveexec_b64 s[6:7], vcc
	s_xor_b64 s[6:7], exec, s[6:7]
	s_cbranch_execnz .LBB15_6
; %bb.2:
	s_andn2_saveexec_b64 s[2:3], s[6:7]
	s_cbranch_execnz .LBB15_13
.LBB15_3:
	s_or_b64 exec, exec, s[2:3]
	s_and_b64 exec, exec, s[10:11]
	s_cbranch_execz .LBB15_5
.LBB15_4:
	s_load_dwordx2 s[2:3], s[4:5], 0x20
	s_load_dwordx2 s[6:7], s[4:5], 0x10
	s_waitcnt lgkmcnt(0)
	s_ashr_i32 s1, s0, 31
	v_mov_b32_e32 v1, 0
	v_lshlrev_b64 v[0:1], 2, v[0:1]
	s_mul_i32 s3, s8, s3
	s_mul_hi_u32 s4, s8, s2
	s_mul_i32 s2, s8, s2
	s_add_i32 s3, s4, s3
	s_lshl_b64 s[2:3], s[2:3], 2
	s_add_u32 s2, s6, s2
	s_addc_u32 s3, s7, s3
	s_lshl_b64 s[0:1], s[0:1], 2
	s_add_u32 s0, s2, s0
	s_addc_u32 s1, s3, s1
	v_mov_b32_e32 v2, s1
	v_add_co_u32_e32 v0, vcc, s0, v0
	v_addc_co_u32_e32 v1, vcc, v2, v1, vcc
	global_store_dword v[0:1], v3, off
.LBB15_5:
	s_endpgm
.LBB15_6:
	v_cmp_ge_u32_e32 vcc, v2, v4
                                        ; implicit-def: $sgpr9
                                        ; implicit-def: $vgpr0
	s_and_saveexec_b64 s[12:13], vcc
	s_xor_b64 s[12:13], exec, s[12:13]
	s_cbranch_execz .LBB15_10
; %bb.7:
	v_cmp_le_u32_e32 vcc, s2, v4
	s_mov_b64 s[2:3], 0
                                        ; implicit-def: $sgpr9
                                        ; implicit-def: $vgpr0
	s_and_saveexec_b64 s[10:11], vcc
	s_xor_b64 s[10:11], exec, s[10:11]
	s_cbranch_execz .LBB15_9
; %bb.8:
	s_mov_b64 s[2:3], exec
	s_waitcnt lgkmcnt(0)
	v_mad_u64_u32 v[0:1], s[14:15], v2, s1, v[4:5]
	s_mov_b32 s9, 0
.LBB15_9:
	s_or_b64 exec, exec, s[10:11]
	s_and_b64 s[10:11], s[2:3], exec
                                        ; implicit-def: $vgpr4
                                        ; implicit-def: $vgpr2
.LBB15_10:
	s_or_saveexec_b64 s[2:3], s[12:13]
	v_mov_b32_e32 v3, s9
	s_xor_b64 exec, exec, s[2:3]
	s_cbranch_execz .LBB15_12
; %bb.11:
	s_waitcnt lgkmcnt(0)
	v_mad_u64_u32 v[0:1], s[12:13], v2, s1, v[4:5]
	v_mov_b32_e32 v3, 0
	s_or_b64 s[10:11], s[10:11], exec
.LBB15_12:
	s_or_b64 exec, exec, s[2:3]
	s_and_b64 s[10:11], s[10:11], exec
                                        ; implicit-def: $vgpr2
	s_andn2_saveexec_b64 s[2:3], s[6:7]
	s_cbranch_execz .LBB15_3
.LBB15_13:
	s_waitcnt lgkmcnt(0)
	v_mad_u64_u32 v[0:1], s[6:7], v2, s1, v[2:3]
	v_mov_b32_e32 v3, 1.0
	s_or_b64 s[10:11], s[10:11], exec
	s_or_b64 exec, exec, s[2:3]
	s_and_b64 exec, exec, s[10:11]
	s_cbranch_execnz .LBB15_4
	s_branch .LBB15_5
	.section	.rodata,"a",@progbits
	.p2align	6, 0x0
	.amdhsa_kernel _ZN9rocsolver6v33100L16orgl2_init_identIfPfEEviiiT0_iil
		.amdhsa_group_segment_fixed_size 0
		.amdhsa_private_segment_fixed_size 0
		.amdhsa_kernarg_size 296
		.amdhsa_user_sgpr_count 6
		.amdhsa_user_sgpr_private_segment_buffer 1
		.amdhsa_user_sgpr_dispatch_ptr 0
		.amdhsa_user_sgpr_queue_ptr 0
		.amdhsa_user_sgpr_kernarg_segment_ptr 1
		.amdhsa_user_sgpr_dispatch_id 0
		.amdhsa_user_sgpr_flat_scratch_init 0
		.amdhsa_user_sgpr_kernarg_preload_length 0
		.amdhsa_user_sgpr_kernarg_preload_offset 0
		.amdhsa_user_sgpr_private_segment_size 0
		.amdhsa_uses_dynamic_stack 0
		.amdhsa_system_sgpr_private_segment_wavefront_offset 0
		.amdhsa_system_sgpr_workgroup_id_x 1
		.amdhsa_system_sgpr_workgroup_id_y 1
		.amdhsa_system_sgpr_workgroup_id_z 1
		.amdhsa_system_sgpr_workgroup_info 0
		.amdhsa_system_vgpr_workitem_id 1
		.amdhsa_next_free_vgpr 6
		.amdhsa_next_free_sgpr 16
		.amdhsa_accum_offset 8
		.amdhsa_reserve_vcc 1
		.amdhsa_reserve_flat_scratch 0
		.amdhsa_float_round_mode_32 0
		.amdhsa_float_round_mode_16_64 0
		.amdhsa_float_denorm_mode_32 3
		.amdhsa_float_denorm_mode_16_64 3
		.amdhsa_dx10_clamp 1
		.amdhsa_ieee_mode 1
		.amdhsa_fp16_overflow 0
		.amdhsa_tg_split 0
		.amdhsa_exception_fp_ieee_invalid_op 0
		.amdhsa_exception_fp_denorm_src 0
		.amdhsa_exception_fp_ieee_div_zero 0
		.amdhsa_exception_fp_ieee_overflow 0
		.amdhsa_exception_fp_ieee_underflow 0
		.amdhsa_exception_fp_ieee_inexact 0
		.amdhsa_exception_int_div_zero 0
	.end_amdhsa_kernel
	.section	.text._ZN9rocsolver6v33100L16orgl2_init_identIfPfEEviiiT0_iil,"axG",@progbits,_ZN9rocsolver6v33100L16orgl2_init_identIfPfEEviiiT0_iil,comdat
.Lfunc_end15:
	.size	_ZN9rocsolver6v33100L16orgl2_init_identIfPfEEviiiT0_iil, .Lfunc_end15-_ZN9rocsolver6v33100L16orgl2_init_identIfPfEEviiiT0_iil
                                        ; -- End function
	.section	.AMDGPU.csdata,"",@progbits
; Kernel info:
; codeLenInByte = 388
; NumSgprs: 20
; NumVgprs: 6
; NumAgprs: 0
; TotalNumVgprs: 6
; ScratchSize: 0
; MemoryBound: 0
; FloatMode: 240
; IeeeMode: 1
; LDSByteSize: 0 bytes/workgroup (compile time only)
; SGPRBlocks: 2
; VGPRBlocks: 0
; NumSGPRsForWavesPerEU: 20
; NumVGPRsForWavesPerEU: 6
; AccumOffset: 8
; Occupancy: 8
; WaveLimiterHint : 0
; COMPUTE_PGM_RSRC2:SCRATCH_EN: 0
; COMPUTE_PGM_RSRC2:USER_SGPR: 6
; COMPUTE_PGM_RSRC2:TRAP_HANDLER: 0
; COMPUTE_PGM_RSRC2:TGID_X_EN: 1
; COMPUTE_PGM_RSRC2:TGID_Y_EN: 1
; COMPUTE_PGM_RSRC2:TGID_Z_EN: 1
; COMPUTE_PGM_RSRC2:TIDIG_COMP_CNT: 1
; COMPUTE_PGM_RSRC3_GFX90A:ACCUM_OFFSET: 1
; COMPUTE_PGM_RSRC3_GFX90A:TG_SPLIT: 0
	.section	.text._ZN9rocsolver6v33100L14copyshift_downIfPfEEvbiT0_iilPT_iil,"axG",@progbits,_ZN9rocsolver6v33100L14copyshift_downIfPfEEvbiT0_iilPT_iil,comdat
	.globl	_ZN9rocsolver6v33100L14copyshift_downIfPfEEvbiT0_iilPT_iil ; -- Begin function _ZN9rocsolver6v33100L14copyshift_downIfPfEEvbiT0_iilPT_iil
	.p2align	8
	.type	_ZN9rocsolver6v33100L14copyshift_downIfPfEEvbiT0_iilPT_iil,@function
_ZN9rocsolver6v33100L14copyshift_downIfPfEEvbiT0_iilPT_iil: ; @_ZN9rocsolver6v33100L14copyshift_downIfPfEEvbiT0_iilPT_iil
; %bb.0:
	s_load_dwordx4 s[12:15], s[4:5], 0x0
	s_load_dwordx4 s[0:3], s[4:5], 0x18
	s_load_dword s9, s[4:5], 0x44
	s_load_dwordx2 s[10:11], s[4:5], 0x10
	v_and_b32_e32 v1, 0x3ff, v0
	s_waitcnt lgkmcnt(0)
	s_bitcmp1_b32 s12, 0
	s_cselect_b64 s[16:17], -1, 0
	s_and_b32 s12, s9, 0xffff
	s_lshr_b32 s9, s9, 16
	s_mul_i32 s7, s7, s9
	s_mul_i32 s1, s8, s1
	s_mul_hi_u32 s9, s8, s0
	v_bfe_u32 v0, v0, 10, 10
	s_add_i32 s1, s9, s1
	s_mul_i32 s0, s8, s0
	s_xor_b64 s[16:17], s[16:17], -1
	s_mul_i32 s6, s6, s12
	v_add_u32_e32 v3, s7, v0
	s_ashr_i32 s7, s10, 31
	s_lshl_b64 s[0:1], s[0:1], 2
	v_add_u32_e32 v2, s6, v1
	s_mov_b32 s6, s10
	s_add_u32 s9, s14, s0
	s_addc_u32 s10, s15, s1
	s_lshl_b64 s[0:1], s[6:7], 2
	v_or_b32_e32 v0, v2, v3
	s_add_u32 s6, s9, s0
	v_cmp_eq_u32_e32 vcc, 0, v0
	s_addc_u32 s7, s10, s1
	s_and_b64 s[14:15], vcc, s[16:17]
	s_and_saveexec_b64 s[0:1], s[14:15]
	s_cbranch_execz .LBB16_2
; %bb.1:
	v_mov_b32_e32 v0, 0
	v_mov_b32_e32 v1, 1.0
	global_store_dword v0, v1, s[6:7]
.LBB16_2:
	s_or_b64 exec, exec, s[0:1]
	v_max_u32_e32 v0, v3, v2
	v_cmp_gt_u32_e32 vcc, s13, v0
	v_cmp_le_u32_e64 s[0:1], v2, v3
	s_and_b64 s[0:1], s[0:1], vcc
	s_and_saveexec_b64 s[12:13], s[0:1]
	s_cbranch_execz .LBB16_11
; %bb.3:
	s_load_dword s0, s[4:5], 0x28
	s_load_dwordx2 s[12:13], s[4:5], 0x30
	v_add_u32_e32 v0, 1, v3
	v_mul_lo_u32 v1, v0, v3
	v_lshrrev_b32_e32 v4, 1, v1
	s_waitcnt lgkmcnt(0)
	s_ashr_i32 s1, s0, 31
	s_mul_i32 s5, s8, s13
	s_mul_hi_u32 s9, s8, s12
	s_mul_i32 s4, s8, s12
	s_add_i32 s5, s9, s5
	s_lshl_b64 s[4:5], s[4:5], 2
	s_add_u32 s2, s2, s4
	s_addc_u32 s3, s3, s5
	s_lshl_b64 s[0:1], s[0:1], 2
	s_add_u32 s2, s2, s0
	s_addc_u32 s3, s3, s1
	s_and_b64 vcc, exec, s[16:17]
	v_add_u32_e32 v1, v2, v4
	s_cbranch_vccz .LBB16_5
; %bb.4:
	v_add_u32_e32 v4, v2, v4
	v_mov_b32_e32 v5, 0
	v_lshlrev_b64 v[6:7], 2, v[4:5]
	v_mov_b32_e32 v4, s3
	v_add_co_u32_e32 v6, vcc, s2, v6
	v_addc_co_u32_e32 v7, vcc, v4, v7, vcc
	global_load_dword v8, v[6:7], off
	v_mad_u64_u32 v[6:7], s[0:1], v0, s11, v[2:3]
	v_mov_b32_e32 v7, v5
	v_lshlrev_b64 v[4:5], 2, v[6:7]
	v_mov_b32_e32 v9, s7
	v_add_co_u32_e64 v4, s[0:1], s6, v4
	v_cmp_eq_u32_e32 vcc, v2, v3
	v_addc_co_u32_e64 v5, s[0:1], v9, v5, s[0:1]
	s_mov_b32 s8, 0
	s_and_b64 s[0:1], vcc, exec
	s_waitcnt vmcnt(0)
	global_store_dword v[4:5], v8, off
	v_mov_b32_e32 v3, s8
	s_cbranch_execz .LBB16_6
	s_branch .LBB16_9
.LBB16_5:
	s_mov_b64 s[0:1], 0
                                        ; implicit-def: $sgpr8
	v_mov_b32_e32 v3, s8
.LBB16_6:
	v_cmp_ne_u32_e32 vcc, 0, v2
	v_mov_b32_e32 v3, 0
	s_and_saveexec_b64 s[0:1], vcc
	s_cbranch_execz .LBB16_8
; %bb.7:
	v_mul_lo_u32 v0, v0, s11
	v_add3_u32 v2, v2, v0, -1
	v_mov_b32_e32 v3, 0
	v_lshlrev_b64 v[2:3], 2, v[2:3]
	v_mov_b32_e32 v0, s7
	v_add_co_u32_e32 v2, vcc, s6, v2
	v_addc_co_u32_e32 v3, vcc, v0, v3, vcc
	global_load_dword v3, v[2:3], off
.LBB16_8:
	s_or_b64 exec, exec, s[0:1]
	s_mov_b64 s[0:1], -1
	s_mov_b64 s[6:7], s[2:3]
	v_mov_b32_e32 v0, v1
.LBB16_9:
	s_and_b64 exec, exec, s[0:1]
	s_cbranch_execz .LBB16_11
; %bb.10:
	v_mov_b32_e32 v1, 0
	v_lshlrev_b64 v[0:1], 2, v[0:1]
	v_mov_b32_e32 v2, s7
	v_add_co_u32_e32 v0, vcc, s6, v0
	v_addc_co_u32_e32 v1, vcc, v2, v1, vcc
	s_waitcnt vmcnt(0)
	global_store_dword v[0:1], v3, off
.LBB16_11:
	s_endpgm
	.section	.rodata,"a",@progbits
	.p2align	6, 0x0
	.amdhsa_kernel _ZN9rocsolver6v33100L14copyshift_downIfPfEEvbiT0_iilPT_iil
		.amdhsa_group_segment_fixed_size 0
		.amdhsa_private_segment_fixed_size 0
		.amdhsa_kernarg_size 312
		.amdhsa_user_sgpr_count 6
		.amdhsa_user_sgpr_private_segment_buffer 1
		.amdhsa_user_sgpr_dispatch_ptr 0
		.amdhsa_user_sgpr_queue_ptr 0
		.amdhsa_user_sgpr_kernarg_segment_ptr 1
		.amdhsa_user_sgpr_dispatch_id 0
		.amdhsa_user_sgpr_flat_scratch_init 0
		.amdhsa_user_sgpr_kernarg_preload_length 0
		.amdhsa_user_sgpr_kernarg_preload_offset 0
		.amdhsa_user_sgpr_private_segment_size 0
		.amdhsa_uses_dynamic_stack 0
		.amdhsa_system_sgpr_private_segment_wavefront_offset 0
		.amdhsa_system_sgpr_workgroup_id_x 1
		.amdhsa_system_sgpr_workgroup_id_y 1
		.amdhsa_system_sgpr_workgroup_id_z 1
		.amdhsa_system_sgpr_workgroup_info 0
		.amdhsa_system_vgpr_workitem_id 1
		.amdhsa_next_free_vgpr 10
		.amdhsa_next_free_sgpr 18
		.amdhsa_accum_offset 12
		.amdhsa_reserve_vcc 1
		.amdhsa_reserve_flat_scratch 0
		.amdhsa_float_round_mode_32 0
		.amdhsa_float_round_mode_16_64 0
		.amdhsa_float_denorm_mode_32 3
		.amdhsa_float_denorm_mode_16_64 3
		.amdhsa_dx10_clamp 1
		.amdhsa_ieee_mode 1
		.amdhsa_fp16_overflow 0
		.amdhsa_tg_split 0
		.amdhsa_exception_fp_ieee_invalid_op 0
		.amdhsa_exception_fp_denorm_src 0
		.amdhsa_exception_fp_ieee_div_zero 0
		.amdhsa_exception_fp_ieee_overflow 0
		.amdhsa_exception_fp_ieee_underflow 0
		.amdhsa_exception_fp_ieee_inexact 0
		.amdhsa_exception_int_div_zero 0
	.end_amdhsa_kernel
	.section	.text._ZN9rocsolver6v33100L14copyshift_downIfPfEEvbiT0_iilPT_iil,"axG",@progbits,_ZN9rocsolver6v33100L14copyshift_downIfPfEEvbiT0_iilPT_iil,comdat
.Lfunc_end16:
	.size	_ZN9rocsolver6v33100L14copyshift_downIfPfEEvbiT0_iilPT_iil, .Lfunc_end16-_ZN9rocsolver6v33100L14copyshift_downIfPfEEvbiT0_iilPT_iil
                                        ; -- End function
	.section	.AMDGPU.csdata,"",@progbits
; Kernel info:
; codeLenInByte = 548
; NumSgprs: 22
; NumVgprs: 10
; NumAgprs: 0
; TotalNumVgprs: 10
; ScratchSize: 0
; MemoryBound: 0
; FloatMode: 240
; IeeeMode: 1
; LDSByteSize: 0 bytes/workgroup (compile time only)
; SGPRBlocks: 2
; VGPRBlocks: 1
; NumSGPRsForWavesPerEU: 22
; NumVGPRsForWavesPerEU: 10
; AccumOffset: 12
; Occupancy: 8
; WaveLimiterHint : 0
; COMPUTE_PGM_RSRC2:SCRATCH_EN: 0
; COMPUTE_PGM_RSRC2:USER_SGPR: 6
; COMPUTE_PGM_RSRC2:TRAP_HANDLER: 0
; COMPUTE_PGM_RSRC2:TGID_X_EN: 1
; COMPUTE_PGM_RSRC2:TGID_Y_EN: 1
; COMPUTE_PGM_RSRC2:TGID_Z_EN: 1
; COMPUTE_PGM_RSRC2:TIDIG_COMP_CNT: 1
; COMPUTE_PGM_RSRC3_GFX90A:ACCUM_OFFSET: 2
; COMPUTE_PGM_RSRC3_GFX90A:TG_SPLIT: 0
	.section	.text._ZN9rocsolver6v33100L6iota_nIdEEvPT_jS2_,"axG",@progbits,_ZN9rocsolver6v33100L6iota_nIdEEvPT_jS2_,comdat
	.globl	_ZN9rocsolver6v33100L6iota_nIdEEvPT_jS2_ ; -- Begin function _ZN9rocsolver6v33100L6iota_nIdEEvPT_jS2_
	.p2align	8
	.type	_ZN9rocsolver6v33100L6iota_nIdEEvPT_jS2_,@function
_ZN9rocsolver6v33100L6iota_nIdEEvPT_jS2_: ; @_ZN9rocsolver6v33100L6iota_nIdEEvPT_jS2_
; %bb.0:
	s_load_dword s0, s[4:5], 0x8
	s_waitcnt lgkmcnt(0)
	v_cmp_gt_u32_e32 vcc, s0, v0
	s_and_saveexec_b64 s[0:1], vcc
	s_cbranch_execz .LBB17_2
; %bb.1:
	s_load_dwordx2 s[0:1], s[4:5], 0x10
	s_load_dwordx2 s[2:3], s[4:5], 0x0
	v_lshlrev_b32_e32 v2, 3, v0
	v_cvt_f64_u32_e32 v[0:1], v0
	s_waitcnt lgkmcnt(0)
	v_add_f64 v[0:1], v[0:1], s[0:1]
	global_store_dwordx2 v2, v[0:1], s[2:3]
.LBB17_2:
	s_endpgm
	.section	.rodata,"a",@progbits
	.p2align	6, 0x0
	.amdhsa_kernel _ZN9rocsolver6v33100L6iota_nIdEEvPT_jS2_
		.amdhsa_group_segment_fixed_size 0
		.amdhsa_private_segment_fixed_size 0
		.amdhsa_kernarg_size 24
		.amdhsa_user_sgpr_count 6
		.amdhsa_user_sgpr_private_segment_buffer 1
		.amdhsa_user_sgpr_dispatch_ptr 0
		.amdhsa_user_sgpr_queue_ptr 0
		.amdhsa_user_sgpr_kernarg_segment_ptr 1
		.amdhsa_user_sgpr_dispatch_id 0
		.amdhsa_user_sgpr_flat_scratch_init 0
		.amdhsa_user_sgpr_kernarg_preload_length 0
		.amdhsa_user_sgpr_kernarg_preload_offset 0
		.amdhsa_user_sgpr_private_segment_size 0
		.amdhsa_uses_dynamic_stack 0
		.amdhsa_system_sgpr_private_segment_wavefront_offset 0
		.amdhsa_system_sgpr_workgroup_id_x 1
		.amdhsa_system_sgpr_workgroup_id_y 0
		.amdhsa_system_sgpr_workgroup_id_z 0
		.amdhsa_system_sgpr_workgroup_info 0
		.amdhsa_system_vgpr_workitem_id 0
		.amdhsa_next_free_vgpr 3
		.amdhsa_next_free_sgpr 6
		.amdhsa_accum_offset 4
		.amdhsa_reserve_vcc 1
		.amdhsa_reserve_flat_scratch 0
		.amdhsa_float_round_mode_32 0
		.amdhsa_float_round_mode_16_64 0
		.amdhsa_float_denorm_mode_32 3
		.amdhsa_float_denorm_mode_16_64 3
		.amdhsa_dx10_clamp 1
		.amdhsa_ieee_mode 1
		.amdhsa_fp16_overflow 0
		.amdhsa_tg_split 0
		.amdhsa_exception_fp_ieee_invalid_op 0
		.amdhsa_exception_fp_denorm_src 0
		.amdhsa_exception_fp_ieee_div_zero 0
		.amdhsa_exception_fp_ieee_overflow 0
		.amdhsa_exception_fp_ieee_underflow 0
		.amdhsa_exception_fp_ieee_inexact 0
		.amdhsa_exception_int_div_zero 0
	.end_amdhsa_kernel
	.section	.text._ZN9rocsolver6v33100L6iota_nIdEEvPT_jS2_,"axG",@progbits,_ZN9rocsolver6v33100L6iota_nIdEEvPT_jS2_,comdat
.Lfunc_end17:
	.size	_ZN9rocsolver6v33100L6iota_nIdEEvPT_jS2_, .Lfunc_end17-_ZN9rocsolver6v33100L6iota_nIdEEvPT_jS2_
                                        ; -- End function
	.section	.AMDGPU.csdata,"",@progbits
; Kernel info:
; codeLenInByte = 72
; NumSgprs: 10
; NumVgprs: 3
; NumAgprs: 0
; TotalNumVgprs: 3
; ScratchSize: 0
; MemoryBound: 0
; FloatMode: 240
; IeeeMode: 1
; LDSByteSize: 0 bytes/workgroup (compile time only)
; SGPRBlocks: 1
; VGPRBlocks: 0
; NumSGPRsForWavesPerEU: 10
; NumVGPRsForWavesPerEU: 3
; AccumOffset: 4
; Occupancy: 8
; WaveLimiterHint : 0
; COMPUTE_PGM_RSRC2:SCRATCH_EN: 0
; COMPUTE_PGM_RSRC2:USER_SGPR: 6
; COMPUTE_PGM_RSRC2:TRAP_HANDLER: 0
; COMPUTE_PGM_RSRC2:TGID_X_EN: 1
; COMPUTE_PGM_RSRC2:TGID_Y_EN: 0
; COMPUTE_PGM_RSRC2:TGID_Z_EN: 0
; COMPUTE_PGM_RSRC2:TIDIG_COMP_CNT: 0
; COMPUTE_PGM_RSRC3_GFX90A:ACCUM_OFFSET: 0
; COMPUTE_PGM_RSRC3_GFX90A:TG_SPLIT: 0
	.section	.text._ZN9rocsolver6v33100L16org2r_init_identIdPdEEviiiT0_iil,"axG",@progbits,_ZN9rocsolver6v33100L16org2r_init_identIdPdEEviiiT0_iil,comdat
	.globl	_ZN9rocsolver6v33100L16org2r_init_identIdPdEEviiiT0_iil ; -- Begin function _ZN9rocsolver6v33100L16org2r_init_identIdPdEEviiiT0_iil
	.p2align	8
	.type	_ZN9rocsolver6v33100L16org2r_init_identIdPdEEviiiT0_iil,@function
_ZN9rocsolver6v33100L16org2r_init_identIdPdEEviiiT0_iil: ; @_ZN9rocsolver6v33100L16org2r_init_identIdPdEEviiiT0_iil
; %bb.0:
	s_load_dword s9, s[4:5], 0x34
	s_load_dwordx4 s[0:3], s[4:5], 0x0
	v_bfe_u32 v1, v0, 10, 10
	v_and_b32_e32 v0, 0x3ff, v0
	s_waitcnt lgkmcnt(0)
	s_lshr_b32 s3, s9, 16
	s_and_b32 s9, s9, 0xffff
	s_mul_i32 s7, s7, s3
	s_mul_i32 s6, s6, s9
	v_add_u32_e32 v2, s7, v1
	v_add_u32_e32 v6, s6, v0
	v_cmp_gt_u32_e32 vcc, s0, v6
	v_cmp_gt_u32_e64 s[0:1], s1, v2
	s_and_b64 s[0:1], vcc, s[0:1]
	s_and_saveexec_b64 s[6:7], s[0:1]
	s_cbranch_execz .LBB18_5
; %bb.1:
	s_load_dwordx2 s[0:1], s[4:5], 0x18
	v_cmp_ne_u32_e32 vcc, v6, v2
	s_mov_b64 s[10:11], 0
                                        ; implicit-def: $vgpr4_vgpr5
                                        ; implicit-def: $vgpr0
	s_and_saveexec_b64 s[6:7], vcc
	s_xor_b64 s[6:7], exec, s[6:7]
	s_cbranch_execnz .LBB18_6
; %bb.2:
	s_andn2_saveexec_b64 s[2:3], s[6:7]
	s_cbranch_execnz .LBB18_13
.LBB18_3:
	s_or_b64 exec, exec, s[2:3]
	s_and_b64 exec, exec, s[10:11]
	s_cbranch_execz .LBB18_5
.LBB18_4:
	s_load_dwordx2 s[2:3], s[4:5], 0x20
	s_load_dwordx2 s[6:7], s[4:5], 0x10
	s_waitcnt lgkmcnt(0)
	s_ashr_i32 s1, s0, 31
	v_mov_b32_e32 v1, 0
	v_lshlrev_b64 v[0:1], 3, v[0:1]
	s_mul_i32 s3, s8, s3
	s_mul_hi_u32 s4, s8, s2
	s_mul_i32 s2, s8, s2
	s_add_i32 s3, s4, s3
	s_lshl_b64 s[2:3], s[2:3], 3
	s_add_u32 s2, s6, s2
	s_addc_u32 s3, s7, s3
	s_lshl_b64 s[0:1], s[0:1], 3
	s_add_u32 s0, s2, s0
	s_addc_u32 s1, s3, s1
	v_mov_b32_e32 v2, s1
	v_add_co_u32_e32 v0, vcc, s0, v0
	v_addc_co_u32_e32 v1, vcc, v2, v1, vcc
	global_store_dwordx2 v[0:1], v[4:5], off
.LBB18_5:
	s_endpgm
.LBB18_6:
	v_cmp_le_u32_e32 vcc, v2, v6
                                        ; implicit-def: $sgpr12_sgpr13
                                        ; implicit-def: $vgpr0
	s_and_saveexec_b64 s[14:15], vcc
	s_xor_b64 s[14:15], exec, s[14:15]
	s_cbranch_execz .LBB18_10
; %bb.7:
	v_cmp_le_u32_e32 vcc, s2, v2
	s_mov_b64 s[2:3], 0
                                        ; implicit-def: $sgpr12_sgpr13
                                        ; implicit-def: $vgpr0
	s_and_saveexec_b64 s[10:11], vcc
	s_xor_b64 s[10:11], exec, s[10:11]
	s_cbranch_execz .LBB18_9
; %bb.8:
	s_waitcnt lgkmcnt(0)
	v_mad_u64_u32 v[0:1], s[12:13], v2, s1, v[6:7]
	s_mov_b64 s[2:3], exec
	s_mov_b64 s[12:13], 0
.LBB18_9:
	s_or_b64 exec, exec, s[10:11]
	s_and_b64 s[10:11], s[2:3], exec
                                        ; implicit-def: $vgpr6
                                        ; implicit-def: $vgpr2
.LBB18_10:
	s_or_saveexec_b64 s[2:3], s[14:15]
	v_pk_mov_b32 v[4:5], s[12:13], s[12:13] op_sel:[0,1]
	s_xor_b64 exec, exec, s[2:3]
	s_cbranch_execz .LBB18_12
; %bb.11:
	s_waitcnt lgkmcnt(0)
	v_mad_u64_u32 v[0:1], s[12:13], v2, s1, v[6:7]
	v_pk_mov_b32 v[4:5], 0, 0
	s_or_b64 s[10:11], s[10:11], exec
.LBB18_12:
	s_or_b64 exec, exec, s[2:3]
	s_and_b64 s[10:11], s[10:11], exec
                                        ; implicit-def: $vgpr2
	s_andn2_saveexec_b64 s[2:3], s[6:7]
	s_cbranch_execz .LBB18_3
.LBB18_13:
	v_mov_b32_e32 v4, 0
	s_waitcnt lgkmcnt(0)
	v_mad_u64_u32 v[0:1], s[6:7], v2, s1, v[2:3]
	v_mov_b32_e32 v5, 0x3ff00000
	s_or_b64 s[10:11], s[10:11], exec
	s_or_b64 exec, exec, s[2:3]
	s_and_b64 exec, exec, s[10:11]
	s_cbranch_execnz .LBB18_4
	s_branch .LBB18_5
	.section	.rodata,"a",@progbits
	.p2align	6, 0x0
	.amdhsa_kernel _ZN9rocsolver6v33100L16org2r_init_identIdPdEEviiiT0_iil
		.amdhsa_group_segment_fixed_size 0
		.amdhsa_private_segment_fixed_size 0
		.amdhsa_kernarg_size 296
		.amdhsa_user_sgpr_count 6
		.amdhsa_user_sgpr_private_segment_buffer 1
		.amdhsa_user_sgpr_dispatch_ptr 0
		.amdhsa_user_sgpr_queue_ptr 0
		.amdhsa_user_sgpr_kernarg_segment_ptr 1
		.amdhsa_user_sgpr_dispatch_id 0
		.amdhsa_user_sgpr_flat_scratch_init 0
		.amdhsa_user_sgpr_kernarg_preload_length 0
		.amdhsa_user_sgpr_kernarg_preload_offset 0
		.amdhsa_user_sgpr_private_segment_size 0
		.amdhsa_uses_dynamic_stack 0
		.amdhsa_system_sgpr_private_segment_wavefront_offset 0
		.amdhsa_system_sgpr_workgroup_id_x 1
		.amdhsa_system_sgpr_workgroup_id_y 1
		.amdhsa_system_sgpr_workgroup_id_z 1
		.amdhsa_system_sgpr_workgroup_info 0
		.amdhsa_system_vgpr_workitem_id 1
		.amdhsa_next_free_vgpr 8
		.amdhsa_next_free_sgpr 16
		.amdhsa_accum_offset 8
		.amdhsa_reserve_vcc 1
		.amdhsa_reserve_flat_scratch 0
		.amdhsa_float_round_mode_32 0
		.amdhsa_float_round_mode_16_64 0
		.amdhsa_float_denorm_mode_32 3
		.amdhsa_float_denorm_mode_16_64 3
		.amdhsa_dx10_clamp 1
		.amdhsa_ieee_mode 1
		.amdhsa_fp16_overflow 0
		.amdhsa_tg_split 0
		.amdhsa_exception_fp_ieee_invalid_op 0
		.amdhsa_exception_fp_denorm_src 0
		.amdhsa_exception_fp_ieee_div_zero 0
		.amdhsa_exception_fp_ieee_overflow 0
		.amdhsa_exception_fp_ieee_underflow 0
		.amdhsa_exception_fp_ieee_inexact 0
		.amdhsa_exception_int_div_zero 0
	.end_amdhsa_kernel
	.section	.text._ZN9rocsolver6v33100L16org2r_init_identIdPdEEviiiT0_iil,"axG",@progbits,_ZN9rocsolver6v33100L16org2r_init_identIdPdEEviiiT0_iil,comdat
.Lfunc_end18:
	.size	_ZN9rocsolver6v33100L16org2r_init_identIdPdEEviiiT0_iil, .Lfunc_end18-_ZN9rocsolver6v33100L16org2r_init_identIdPdEEviiiT0_iil
                                        ; -- End function
	.section	.AMDGPU.csdata,"",@progbits
; Kernel info:
; codeLenInByte = 404
; NumSgprs: 20
; NumVgprs: 8
; NumAgprs: 0
; TotalNumVgprs: 8
; ScratchSize: 0
; MemoryBound: 0
; FloatMode: 240
; IeeeMode: 1
; LDSByteSize: 0 bytes/workgroup (compile time only)
; SGPRBlocks: 2
; VGPRBlocks: 0
; NumSGPRsForWavesPerEU: 20
; NumVGPRsForWavesPerEU: 8
; AccumOffset: 8
; Occupancy: 8
; WaveLimiterHint : 0
; COMPUTE_PGM_RSRC2:SCRATCH_EN: 0
; COMPUTE_PGM_RSRC2:USER_SGPR: 6
; COMPUTE_PGM_RSRC2:TRAP_HANDLER: 0
; COMPUTE_PGM_RSRC2:TGID_X_EN: 1
; COMPUTE_PGM_RSRC2:TGID_Y_EN: 1
; COMPUTE_PGM_RSRC2:TGID_Z_EN: 1
; COMPUTE_PGM_RSRC2:TIDIG_COMP_CNT: 1
; COMPUTE_PGM_RSRC3_GFX90A:ACCUM_OFFSET: 1
; COMPUTE_PGM_RSRC3_GFX90A:TG_SPLIT: 0
	.section	.text._ZN9rocsolver6v33100L16larf_left_kernelILi1024EdiPdEEvT1_S3_T2_lS3_lPKT0_lS4_lS3_l,"axG",@progbits,_ZN9rocsolver6v33100L16larf_left_kernelILi1024EdiPdEEvT1_S3_T2_lS3_lPKT0_lS4_lS3_l,comdat
	.globl	_ZN9rocsolver6v33100L16larf_left_kernelILi1024EdiPdEEvT1_S3_T2_lS3_lPKT0_lS4_lS3_l ; -- Begin function _ZN9rocsolver6v33100L16larf_left_kernelILi1024EdiPdEEvT1_S3_T2_lS3_lPKT0_lS4_lS3_l
	.p2align	8
	.type	_ZN9rocsolver6v33100L16larf_left_kernelILi1024EdiPdEEvT1_S3_T2_lS3_lPKT0_lS4_lS3_l,@function
_ZN9rocsolver6v33100L16larf_left_kernelILi1024EdiPdEEvT1_S3_T2_lS3_lPKT0_lS4_lS3_l: ; @_ZN9rocsolver6v33100L16larf_left_kernelILi1024EdiPdEEvT1_S3_T2_lS3_lPKT0_lS4_lS3_l
; %bb.0:
	s_load_dword s9, s[4:5], 0x0
	s_load_dwordx2 s[2:3], s[4:5], 0x40
	s_load_dword s20, s[4:5], 0x48
	s_load_dwordx2 s[10:11], s[4:5], 0x50
	s_load_dwordx8 s[12:19], s[4:5], 0x20
	s_ashr_i32 s25, s8, 31
	s_waitcnt lgkmcnt(0)
	v_cmp_gt_i32_e64 s[0:1], s9, v0
	v_pk_mov_b32 v[2:3], 0, 0
	s_mul_i32 s22, s10, s25
	s_mul_hi_u32 s23, s10, s8
	s_mul_i32 s24, s11, s8
	s_mul_i32 s6, s10, s8
	s_mul_hi_i32 s11, s7, s20
	s_mul_i32 s10, s7, s20
	s_and_saveexec_b64 s[20:21], s[0:1]
	s_cbranch_execz .LBB19_6
; %bb.1:
	s_load_dword s26, s[4:5], 0x18
	s_load_dwordx4 s[28:31], s[4:5], 0x8
	s_sub_i32 s4, 1, s9
	s_mul_hi_u32 s33, s12, s8
	s_mul_i32 s13, s13, s8
	s_waitcnt lgkmcnt(0)
	s_ashr_i32 s27, s26, 31
	s_mul_i32 s7, s4, s26
	v_cmp_lt_i64_e64 s[4:5], s[26:27], 1
	s_and_b64 s[4:5], s[4:5], exec
	s_cselect_b32 s4, s7, 0
	s_mul_i32 s7, s12, s25
	s_add_i32 s7, s33, s7
	s_ashr_i32 s5, s4, 31
	s_add_i32 s13, s7, s13
	s_mul_i32 s12, s12, s8
	s_lshl_b64 s[12:13], s[12:13], 3
	s_lshl_b64 s[30:31], s[30:31], 3
	;; [unrolled: 1-line block ×3, first 2 shown]
	s_add_u32 s4, s28, s4
	s_addc_u32 s5, s29, s5
	s_add_u32 s4, s4, s30
	s_addc_u32 s5, s5, s31
	v_mad_i64_i32 v[2:3], s[34:35], s26, v0, 0
	s_add_u32 s4, s4, s12
	v_lshl_add_u32 v1, v0, 3, 0
	v_lshlrev_b64 v[2:3], 3, v[2:3]
	s_addc_u32 s5, s5, s13
	v_add_u32_e32 v1, 0x80, v1
	v_mov_b32_e32 v4, s5
	v_add_co_u32_e32 v2, vcc, s4, v2
	s_lshl_b64 s[12:13], s[26:27], 13
	v_addc_co_u32_e32 v3, vcc, v4, v3, vcc
	s_mov_b64 s[4:5], 0
	v_mov_b32_e32 v4, s13
	v_mov_b32_e32 v5, v1
	;; [unrolled: 1-line block ×3, first 2 shown]
.LBB19_2:                               ; =>This Inner Loop Header: Depth=1
	global_load_dwordx2 v[8:9], v[2:3], off
	v_add_co_u32_e32 v2, vcc, s12, v2
	v_add_u32_e32 v6, 0x400, v6
	v_addc_co_u32_e32 v3, vcc, v3, v4, vcc
	v_cmp_le_i32_e32 vcc, s9, v6
	s_or_b64 s[4:5], vcc, s[4:5]
	s_waitcnt vmcnt(0)
	ds_write_b64 v5, v[8:9]
	v_add_u32_e32 v5, 0x2000, v5
	s_andn2_b64 exec, exec, s[4:5]
	s_cbranch_execnz .LBB19_2
; %bb.3:
	s_or_b64 exec, exec, s[4:5]
	s_add_i32 s4, s23, s22
	s_add_i32 s7, s4, s24
	s_lshl_b64 s[4:5], s[6:7], 3
	s_lshl_b64 s[12:13], s[10:11], 3
	s_add_u32 s7, s4, s12
	s_addc_u32 s12, s5, s13
	s_lshl_b64 s[4:5], s[2:3], 3
	s_add_u32 s4, s7, s4
	s_addc_u32 s5, s12, s5
	s_add_u32 s4, s18, s4
	v_lshlrev_b32_e32 v2, 3, v0
	s_addc_u32 s5, s19, s5
	v_mov_b32_e32 v3, s5
	v_add_co_u32_e32 v4, vcc, s4, v2
	v_addc_co_u32_e32 v5, vcc, 0, v3, vcc
	s_mov_b64 s[4:5], 0
	v_pk_mov_b32 v[2:3], 0, 0
	v_mov_b32_e32 v6, v0
.LBB19_4:                               ; =>This Inner Loop Header: Depth=1
	global_load_dwordx2 v[8:9], v[4:5], off
	ds_read_b64 v[10:11], v1
	v_add_co_u32_e32 v4, vcc, 0x2000, v4
	v_add_u32_e32 v6, 0x400, v6
	v_addc_co_u32_e32 v5, vcc, 0, v5, vcc
	v_cmp_le_i32_e32 vcc, s9, v6
	v_add_u32_e32 v1, 0x2000, v1
	s_or_b64 s[4:5], vcc, s[4:5]
	s_waitcnt vmcnt(0) lgkmcnt(0)
	v_mul_f64 v[8:9], v[8:9], v[10:11]
	v_add_f64 v[2:3], v[2:3], v[8:9]
	s_andn2_b64 exec, exec, s[4:5]
	s_cbranch_execnz .LBB19_4
; %bb.5:
	s_or_b64 exec, exec, s[4:5]
.LBB19_6:
	s_or_b64 exec, exec, s[20:21]
	v_mbcnt_lo_u32_b32 v1, -1, 0
	v_mbcnt_hi_u32_b32 v1, -1, v1
	v_and_b32_e32 v6, 63, v1
	v_cmp_ne_u32_e32 vcc, 63, v6
	v_addc_co_u32_e32 v4, vcc, 0, v1, vcc
	v_lshlrev_b32_e32 v5, 2, v4
	ds_bpermute_b32 v4, v5, v2
	ds_bpermute_b32 v5, v5, v3
	v_cmp_gt_u32_e32 vcc, 62, v6
	s_waitcnt lgkmcnt(0)
	v_add_f64 v[2:3], v[2:3], v[4:5]
	v_cndmask_b32_e64 v4, 0, 1, vcc
	v_lshlrev_b32_e32 v4, 1, v4
	v_add_lshl_u32 v5, v4, v1, 2
	ds_bpermute_b32 v4, v5, v2
	ds_bpermute_b32 v5, v5, v3
	v_cmp_gt_u32_e32 vcc, 60, v6
	s_waitcnt lgkmcnt(0)
	v_add_f64 v[2:3], v[2:3], v[4:5]
	v_cndmask_b32_e64 v4, 0, 1, vcc
	v_lshlrev_b32_e32 v4, 2, v4
	v_add_lshl_u32 v5, v4, v1, 2
	;; [unrolled: 8-line block ×5, first 2 shown]
	ds_bpermute_b32 v4, v1, v2
	ds_bpermute_b32 v5, v1, v3
	v_and_b32_e32 v1, 63, v0
	v_cmp_eq_u32_e32 vcc, 0, v1
	s_waitcnt lgkmcnt(0)
	v_add_f64 v[2:3], v[2:3], v[4:5]
	s_and_saveexec_b64 s[4:5], vcc
	s_cbranch_execz .LBB19_8
; %bb.7:
	v_lshrrev_b32_e32 v1, 3, v0
	v_add_u32_e32 v1, 0, v1
	ds_write_b64 v1, v[2:3]
.LBB19_8:
	s_or_b64 exec, exec, s[4:5]
	v_cmp_eq_u32_e32 vcc, 0, v0
	s_waitcnt lgkmcnt(0)
	s_barrier
	s_and_saveexec_b64 s[4:5], vcc
	s_cbranch_execz .LBB19_10
; %bb.9:
	v_mov_b32_e32 v1, 0
	ds_read2_b64 v[4:7], v1 offset0:1 offset1:2
	ds_read2_b64 v[8:11], v1 offset0:3 offset1:4
	;; [unrolled: 1-line block ×4, first 2 shown]
	s_waitcnt lgkmcnt(3)
	v_add_f64 v[2:3], v[2:3], v[4:5]
	v_add_f64 v[2:3], v[2:3], v[6:7]
	s_waitcnt lgkmcnt(2)
	v_add_f64 v[2:3], v[2:3], v[8:9]
	v_add_f64 v[2:3], v[2:3], v[10:11]
	s_waitcnt lgkmcnt(1)
	v_add_f64 v[6:7], v[2:3], v[12:13]
	ds_read2_b64 v[2:5], v1 offset0:9 offset1:10
	v_add_f64 v[6:7], v[6:7], v[14:15]
	s_waitcnt lgkmcnt(1)
	v_add_f64 v[6:7], v[6:7], v[16:17]
	v_add_f64 v[10:11], v[6:7], v[18:19]
	ds_read2_b64 v[6:9], v1 offset0:11 offset1:12
	s_waitcnt lgkmcnt(1)
	v_add_f64 v[2:3], v[10:11], v[2:3]
	ds_read2_b64 v[10:13], v1 offset0:13 offset1:14
	v_add_f64 v[2:3], v[2:3], v[4:5]
	ds_read_b64 v[4:5], v1 offset:120
	s_waitcnt lgkmcnt(2)
	v_add_f64 v[2:3], v[2:3], v[6:7]
	v_add_f64 v[2:3], v[2:3], v[8:9]
	s_waitcnt lgkmcnt(1)
	v_add_f64 v[2:3], v[2:3], v[10:11]
	v_add_f64 v[2:3], v[2:3], v[12:13]
	s_waitcnt lgkmcnt(0)
	v_add_f64 v[2:3], v[2:3], v[4:5]
	ds_write_b64 v1, v[2:3]
.LBB19_10:
	s_or_b64 exec, exec, s[4:5]
	s_waitcnt lgkmcnt(0)
	s_barrier
	s_and_saveexec_b64 s[4:5], s[0:1]
	s_cbranch_execz .LBB19_13
; %bb.11:
	s_mul_i32 s0, s8, s17
	s_mul_hi_u32 s1, s8, s16
	s_add_i32 s0, s1, s0
	s_mul_i32 s1, s25, s16
	s_add_i32 s1, s0, s1
	s_mul_i32 s0, s8, s16
	s_lshl_b64 s[0:1], s[0:1], 3
	s_add_u32 s0, s14, s0
	s_addc_u32 s1, s15, s1
	v_mov_b32_e32 v1, 0
	s_load_dwordx2 s[0:1], s[0:1], 0x0
	ds_read_b64 v[2:3], v1
	s_lshl_b64 s[4:5], s[10:11], 3
	v_lshlrev_b32_e32 v4, 3, v0
	v_add_u32_e32 v1, 0, v4
	v_add_u32_e32 v1, 0x80, v1
	s_waitcnt lgkmcnt(0)
	v_mul_f64 v[2:3], v[2:3], -s[0:1]
	s_add_i32 s0, s23, s22
	s_add_i32 s7, s0, s24
	s_lshl_b64 s[0:1], s[6:7], 3
	s_add_u32 s4, s0, s4
	s_addc_u32 s5, s1, s5
	s_lshl_b64 s[0:1], s[2:3], 3
	s_add_u32 s0, s4, s0
	s_addc_u32 s1, s5, s1
	s_add_u32 s0, s18, s0
	s_addc_u32 s1, s19, s1
	v_mov_b32_e32 v5, s1
	v_add_co_u32_e32 v4, vcc, s0, v4
	v_addc_co_u32_e32 v5, vcc, 0, v5, vcc
	s_mov_b64 s[0:1], 0
.LBB19_12:                              ; =>This Inner Loop Header: Depth=1
	global_load_dwordx2 v[6:7], v[4:5], off
	ds_read_b64 v[8:9], v1
	v_add_u32_e32 v0, 0x400, v0
	v_cmp_le_i32_e32 vcc, s9, v0
	s_or_b64 s[0:1], vcc, s[0:1]
	v_add_u32_e32 v1, 0x2000, v1
	s_waitcnt vmcnt(0) lgkmcnt(0)
	v_fmac_f64_e32 v[6:7], v[2:3], v[8:9]
	global_store_dwordx2 v[4:5], v[6:7], off
	v_add_co_u32_e32 v4, vcc, 0x2000, v4
	v_addc_co_u32_e32 v5, vcc, 0, v5, vcc
	s_andn2_b64 exec, exec, s[0:1]
	s_cbranch_execnz .LBB19_12
.LBB19_13:
	s_endpgm
	.section	.rodata,"a",@progbits
	.p2align	6, 0x0
	.amdhsa_kernel _ZN9rocsolver6v33100L16larf_left_kernelILi1024EdiPdEEvT1_S3_T2_lS3_lPKT0_lS4_lS3_l
		.amdhsa_group_segment_fixed_size 0
		.amdhsa_private_segment_fixed_size 0
		.amdhsa_kernarg_size 88
		.amdhsa_user_sgpr_count 6
		.amdhsa_user_sgpr_private_segment_buffer 1
		.amdhsa_user_sgpr_dispatch_ptr 0
		.amdhsa_user_sgpr_queue_ptr 0
		.amdhsa_user_sgpr_kernarg_segment_ptr 1
		.amdhsa_user_sgpr_dispatch_id 0
		.amdhsa_user_sgpr_flat_scratch_init 0
		.amdhsa_user_sgpr_kernarg_preload_length 0
		.amdhsa_user_sgpr_kernarg_preload_offset 0
		.amdhsa_user_sgpr_private_segment_size 0
		.amdhsa_uses_dynamic_stack 0
		.amdhsa_system_sgpr_private_segment_wavefront_offset 0
		.amdhsa_system_sgpr_workgroup_id_x 1
		.amdhsa_system_sgpr_workgroup_id_y 1
		.amdhsa_system_sgpr_workgroup_id_z 1
		.amdhsa_system_sgpr_workgroup_info 0
		.amdhsa_system_vgpr_workitem_id 0
		.amdhsa_next_free_vgpr 20
		.amdhsa_next_free_sgpr 36
		.amdhsa_accum_offset 20
		.amdhsa_reserve_vcc 1
		.amdhsa_reserve_flat_scratch 0
		.amdhsa_float_round_mode_32 0
		.amdhsa_float_round_mode_16_64 0
		.amdhsa_float_denorm_mode_32 3
		.amdhsa_float_denorm_mode_16_64 3
		.amdhsa_dx10_clamp 1
		.amdhsa_ieee_mode 1
		.amdhsa_fp16_overflow 0
		.amdhsa_tg_split 0
		.amdhsa_exception_fp_ieee_invalid_op 0
		.amdhsa_exception_fp_denorm_src 0
		.amdhsa_exception_fp_ieee_div_zero 0
		.amdhsa_exception_fp_ieee_overflow 0
		.amdhsa_exception_fp_ieee_underflow 0
		.amdhsa_exception_fp_ieee_inexact 0
		.amdhsa_exception_int_div_zero 0
	.end_amdhsa_kernel
	.section	.text._ZN9rocsolver6v33100L16larf_left_kernelILi1024EdiPdEEvT1_S3_T2_lS3_lPKT0_lS4_lS3_l,"axG",@progbits,_ZN9rocsolver6v33100L16larf_left_kernelILi1024EdiPdEEvT1_S3_T2_lS3_lPKT0_lS4_lS3_l,comdat
.Lfunc_end19:
	.size	_ZN9rocsolver6v33100L16larf_left_kernelILi1024EdiPdEEvT1_S3_T2_lS3_lPKT0_lS4_lS3_l, .Lfunc_end19-_ZN9rocsolver6v33100L16larf_left_kernelILi1024EdiPdEEvT1_S3_T2_lS3_lPKT0_lS4_lS3_l
                                        ; -- End function
	.section	.AMDGPU.csdata,"",@progbits
; Kernel info:
; codeLenInByte = 1348
; NumSgprs: 40
; NumVgprs: 20
; NumAgprs: 0
; TotalNumVgprs: 20
; ScratchSize: 0
; MemoryBound: 0
; FloatMode: 240
; IeeeMode: 1
; LDSByteSize: 0 bytes/workgroup (compile time only)
; SGPRBlocks: 4
; VGPRBlocks: 2
; NumSGPRsForWavesPerEU: 40
; NumVGPRsForWavesPerEU: 20
; AccumOffset: 20
; Occupancy: 8
; WaveLimiterHint : 0
; COMPUTE_PGM_RSRC2:SCRATCH_EN: 0
; COMPUTE_PGM_RSRC2:USER_SGPR: 6
; COMPUTE_PGM_RSRC2:TRAP_HANDLER: 0
; COMPUTE_PGM_RSRC2:TGID_X_EN: 1
; COMPUTE_PGM_RSRC2:TGID_Y_EN: 1
; COMPUTE_PGM_RSRC2:TGID_Z_EN: 1
; COMPUTE_PGM_RSRC2:TIDIG_COMP_CNT: 0
; COMPUTE_PGM_RSRC3_GFX90A:ACCUM_OFFSET: 4
; COMPUTE_PGM_RSRC3_GFX90A:TG_SPLIT: 0
	.section	.text._ZN9rocsolver6v33100L17larf_right_kernelILi1024EdiPdEEvT1_S3_T2_lS3_lPKT0_lS4_lS3_l,"axG",@progbits,_ZN9rocsolver6v33100L17larf_right_kernelILi1024EdiPdEEvT1_S3_T2_lS3_lPKT0_lS4_lS3_l,comdat
	.globl	_ZN9rocsolver6v33100L17larf_right_kernelILi1024EdiPdEEvT1_S3_T2_lS3_lPKT0_lS4_lS3_l ; -- Begin function _ZN9rocsolver6v33100L17larf_right_kernelILi1024EdiPdEEvT1_S3_T2_lS3_lPKT0_lS4_lS3_l
	.p2align	8
	.type	_ZN9rocsolver6v33100L17larf_right_kernelILi1024EdiPdEEvT1_S3_T2_lS3_lPKT0_lS4_lS3_l,@function
_ZN9rocsolver6v33100L17larf_right_kernelILi1024EdiPdEEvT1_S3_T2_lS3_lPKT0_lS4_lS3_l: ; @_ZN9rocsolver6v33100L17larf_right_kernelILi1024EdiPdEEvT1_S3_T2_lS3_lPKT0_lS4_lS3_l
; %bb.0:
	s_load_dword s9, s[4:5], 0x4
	s_load_dwordx8 s[12:19], s[4:5], 0x20
	s_load_dwordx2 s[10:11], s[4:5], 0x40
	s_load_dword s2, s[4:5], 0x48
	s_load_dwordx2 s[0:1], s[4:5], 0x50
	s_ashr_i32 s27, s8, 31
	s_mov_b32 s6, s7
	s_ashr_i32 s7, s7, 31
	s_waitcnt lgkmcnt(0)
	v_cmp_gt_i32_e32 vcc, s9, v0
	v_pk_mov_b32 v[2:3], 0, 0
	v_lshl_add_u32 v1, v0, 3, 0
	s_mul_i32 s24, s0, s27
	s_mul_hi_u32 s25, s0, s8
	s_mul_i32 s26, s1, s8
	s_mul_i32 s20, s0, s8
	s_and_saveexec_b64 s[22:23], vcc
	s_cbranch_execz .LBB20_6
; %bb.1:
	s_load_dword s34, s[4:5], 0x18
	s_load_dwordx4 s[28:31], s[4:5], 0x8
	s_sub_i32 s0, 1, s9
	s_mul_hi_u32 s4, s12, s8
	v_add_u32_e32 v6, 0x80, v1
	s_waitcnt lgkmcnt(0)
	s_ashr_i32 s35, s34, 31
	s_mul_i32 s3, s0, s34
	v_cmp_lt_i64_e64 s[0:1], s[34:35], 1
	s_and_b64 s[0:1], s[0:1], exec
	s_cselect_b32 s0, s3, 0
	s_mul_i32 s3, s12, s27
	s_add_i32 s3, s4, s3
	s_mul_i32 s4, s13, s8
	s_ashr_i32 s1, s0, 31
	s_add_i32 s5, s3, s4
	s_mul_i32 s4, s12, s8
	v_mad_i64_i32 v[2:3], s[12:13], s34, v0, 0
	s_lshl_b64 s[4:5], s[4:5], 3
	s_lshl_b64 s[12:13], s[30:31], 3
	s_lshl_b64 s[0:1], s[0:1], 3
	s_add_u32 s0, s28, s0
	s_addc_u32 s1, s29, s1
	s_add_u32 s0, s0, s12
	s_addc_u32 s1, s1, s13
	s_add_u32 s0, s0, s4
	v_lshlrev_b64 v[2:3], 3, v[2:3]
	s_addc_u32 s1, s1, s5
	v_mov_b32_e32 v4, s1
	v_add_co_u32_e64 v2, s[0:1], s0, v2
	s_lshl_b64 s[12:13], s[34:35], 13
	v_addc_co_u32_e64 v3, s[0:1], v4, v3, s[0:1]
	s_mov_b64 s[4:5], 0
	v_mov_b32_e32 v4, s13
	v_mov_b32_e32 v5, v6
	;; [unrolled: 1-line block ×3, first 2 shown]
.LBB20_2:                               ; =>This Inner Loop Header: Depth=1
	global_load_dwordx2 v[8:9], v[2:3], off
	v_add_co_u32_e64 v2, s[0:1], s12, v2
	v_add_u32_e32 v7, 0x400, v7
	v_addc_co_u32_e64 v3, s[0:1], v3, v4, s[0:1]
	v_cmp_le_i32_e64 s[0:1], s9, v7
	s_or_b64 s[4:5], s[0:1], s[4:5]
	s_waitcnt vmcnt(0)
	ds_write_b64 v5, v[8:9]
	v_add_u32_e32 v5, 0x2000, v5
	s_andn2_b64 exec, exec, s[4:5]
	s_cbranch_execnz .LBB20_2
; %bb.3:
	s_or_b64 exec, exec, s[4:5]
	s_add_i32 s0, s25, s24
	s_add_i32 s21, s0, s26
	v_mad_i64_i32 v[2:3], s[4:5], s2, v0, 0
	s_ashr_i32 s3, s2, 31
	s_lshl_b64 s[0:1], s[20:21], 3
	s_lshl_b64 s[4:5], s[10:11], 3
	;; [unrolled: 1-line block ×3, first 2 shown]
	s_add_u32 s12, s18, s12
	s_addc_u32 s13, s19, s13
	s_add_u32 s4, s12, s4
	s_addc_u32 s5, s13, s5
	s_add_u32 s0, s4, s0
	v_lshlrev_b64 v[2:3], 3, v[2:3]
	s_addc_u32 s1, s5, s1
	v_mov_b32_e32 v5, s1
	v_add_co_u32_e64 v4, s[0:1], s0, v2
	s_lshl_b64 s[12:13], s[2:3], 13
	v_addc_co_u32_e64 v5, s[0:1], v5, v3, s[0:1]
	s_mov_b64 s[4:5], 0
	v_pk_mov_b32 v[2:3], 0, 0
	v_mov_b32_e32 v7, s13
	v_mov_b32_e32 v8, v0
.LBB20_4:                               ; =>This Inner Loop Header: Depth=1
	global_load_dwordx2 v[10:11], v[4:5], off
	ds_read_b64 v[12:13], v6
	v_add_co_u32_e64 v4, s[0:1], s12, v4
	v_add_u32_e32 v8, 0x400, v8
	v_addc_co_u32_e64 v5, s[0:1], v5, v7, s[0:1]
	v_cmp_le_i32_e64 s[0:1], s9, v8
	v_add_u32_e32 v6, 0x2000, v6
	s_or_b64 s[4:5], s[0:1], s[4:5]
	s_waitcnt vmcnt(0) lgkmcnt(0)
	v_mul_f64 v[10:11], v[10:11], v[12:13]
	v_add_f64 v[2:3], v[2:3], v[10:11]
	s_andn2_b64 exec, exec, s[4:5]
	s_cbranch_execnz .LBB20_4
; %bb.5:
	s_or_b64 exec, exec, s[4:5]
.LBB20_6:
	s_or_b64 exec, exec, s[22:23]
	v_mbcnt_lo_u32_b32 v4, -1, 0
	v_mbcnt_hi_u32_b32 v6, -1, v4
	v_and_b32_e32 v7, 63, v6
	v_cmp_ne_u32_e64 s[0:1], 63, v7
	v_addc_co_u32_e64 v4, s[0:1], 0, v6, s[0:1]
	v_lshlrev_b32_e32 v5, 2, v4
	ds_bpermute_b32 v4, v5, v2
	ds_bpermute_b32 v5, v5, v3
	v_cmp_gt_u32_e64 s[0:1], 62, v7
	s_waitcnt lgkmcnt(0)
	v_add_f64 v[2:3], v[2:3], v[4:5]
	v_cndmask_b32_e64 v4, 0, 1, s[0:1]
	v_lshlrev_b32_e32 v4, 1, v4
	v_add_lshl_u32 v5, v4, v6, 2
	ds_bpermute_b32 v4, v5, v2
	ds_bpermute_b32 v5, v5, v3
	v_cmp_gt_u32_e64 s[0:1], 60, v7
	s_waitcnt lgkmcnt(0)
	v_add_f64 v[2:3], v[2:3], v[4:5]
	v_cndmask_b32_e64 v4, 0, 1, s[0:1]
	v_lshlrev_b32_e32 v4, 2, v4
	v_add_lshl_u32 v5, v4, v6, 2
	;; [unrolled: 8-line block ×5, first 2 shown]
	ds_bpermute_b32 v4, v5, v2
	ds_bpermute_b32 v5, v5, v3
	s_waitcnt lgkmcnt(0)
	v_add_f64 v[2:3], v[2:3], v[4:5]
	v_and_b32_e32 v4, 63, v0
	v_cmp_eq_u32_e64 s[0:1], 0, v4
	s_and_saveexec_b64 s[4:5], s[0:1]
	s_cbranch_execz .LBB20_8
; %bb.7:
	v_lshrrev_b32_e32 v4, 3, v0
	v_add_u32_e32 v4, 0, v4
	ds_write_b64 v4, v[2:3]
.LBB20_8:
	s_or_b64 exec, exec, s[4:5]
	v_cmp_eq_u32_e64 s[0:1], 0, v0
	s_waitcnt lgkmcnt(0)
	s_barrier
	s_and_saveexec_b64 s[4:5], s[0:1]
	s_cbranch_execz .LBB20_10
; %bb.9:
	v_mov_b32_e32 v20, 0
	ds_read2_b64 v[4:7], v20 offset0:1 offset1:2
	ds_read2_b64 v[8:11], v20 offset0:3 offset1:4
	;; [unrolled: 1-line block ×4, first 2 shown]
	s_waitcnt lgkmcnt(3)
	v_add_f64 v[2:3], v[2:3], v[4:5]
	v_add_f64 v[2:3], v[2:3], v[6:7]
	s_waitcnt lgkmcnt(2)
	v_add_f64 v[2:3], v[2:3], v[8:9]
	v_add_f64 v[2:3], v[2:3], v[10:11]
	s_waitcnt lgkmcnt(1)
	v_add_f64 v[6:7], v[2:3], v[12:13]
	ds_read2_b64 v[2:5], v20 offset0:9 offset1:10
	v_add_f64 v[6:7], v[6:7], v[14:15]
	s_waitcnt lgkmcnt(1)
	v_add_f64 v[6:7], v[6:7], v[16:17]
	v_add_f64 v[10:11], v[6:7], v[18:19]
	ds_read2_b64 v[6:9], v20 offset0:11 offset1:12
	s_waitcnt lgkmcnt(1)
	v_add_f64 v[2:3], v[10:11], v[2:3]
	ds_read2_b64 v[10:13], v20 offset0:13 offset1:14
	v_add_f64 v[2:3], v[2:3], v[4:5]
	ds_read_b64 v[4:5], v20 offset:120
	s_waitcnt lgkmcnt(2)
	v_add_f64 v[2:3], v[2:3], v[6:7]
	v_add_f64 v[2:3], v[2:3], v[8:9]
	s_waitcnt lgkmcnt(1)
	v_add_f64 v[2:3], v[2:3], v[10:11]
	v_add_f64 v[2:3], v[2:3], v[12:13]
	s_waitcnt lgkmcnt(0)
	v_add_f64 v[2:3], v[2:3], v[4:5]
	ds_write_b64 v20, v[2:3]
.LBB20_10:
	s_or_b64 exec, exec, s[4:5]
	s_waitcnt lgkmcnt(0)
	s_barrier
	s_and_saveexec_b64 s[0:1], vcc
	s_cbranch_execz .LBB20_13
; %bb.11:
	s_mul_i32 s0, s8, s17
	s_mul_hi_u32 s1, s8, s16
	s_add_i32 s0, s1, s0
	s_mul_i32 s1, s27, s16
	s_add_i32 s1, s0, s1
	s_mul_i32 s0, s8, s16
	s_lshl_b64 s[0:1], s[0:1], 3
	s_add_u32 s0, s14, s0
	s_addc_u32 s1, s15, s1
	v_mov_b32_e32 v2, 0
	s_load_dwordx2 s[0:1], s[0:1], 0x0
	ds_read_b64 v[2:3], v2
	v_mad_i64_i32 v[4:5], s[4:5], s2, v0, 0
	s_ashr_i32 s3, s2, 31
	s_lshl_b64 s[4:5], s[10:11], 3
	s_waitcnt lgkmcnt(0)
	v_mul_f64 v[2:3], v[2:3], -s[0:1]
	s_add_i32 s0, s25, s24
	s_add_i32 s21, s0, s26
	s_lshl_b64 s[0:1], s[20:21], 3
	s_lshl_b64 s[6:7], s[6:7], 3
	s_add_u32 s6, s18, s6
	s_addc_u32 s7, s19, s7
	s_add_u32 s4, s6, s4
	s_addc_u32 s5, s7, s5
	s_add_u32 s0, s4, s0
	v_lshlrev_b64 v[4:5], 3, v[4:5]
	s_addc_u32 s1, s5, s1
	v_mov_b32_e32 v6, s1
	v_add_co_u32_e32 v4, vcc, s0, v4
	s_lshl_b64 s[0:1], s[2:3], 13
	v_add_u32_e32 v1, 0x80, v1
	v_addc_co_u32_e32 v5, vcc, v6, v5, vcc
	s_mov_b64 s[2:3], 0
	v_mov_b32_e32 v6, s1
.LBB20_12:                              ; =>This Inner Loop Header: Depth=1
	global_load_dwordx2 v[8:9], v[4:5], off
	ds_read_b64 v[10:11], v1
	v_add_u32_e32 v0, 0x400, v0
	v_cmp_le_i32_e32 vcc, s9, v0
	s_or_b64 s[2:3], vcc, s[2:3]
	v_add_u32_e32 v1, 0x2000, v1
	s_waitcnt vmcnt(0) lgkmcnt(0)
	v_fmac_f64_e32 v[8:9], v[2:3], v[10:11]
	global_store_dwordx2 v[4:5], v[8:9], off
	v_add_co_u32_e32 v4, vcc, s0, v4
	v_addc_co_u32_e32 v5, vcc, v5, v6, vcc
	s_andn2_b64 exec, exec, s[2:3]
	s_cbranch_execnz .LBB20_12
.LBB20_13:
	s_endpgm
	.section	.rodata,"a",@progbits
	.p2align	6, 0x0
	.amdhsa_kernel _ZN9rocsolver6v33100L17larf_right_kernelILi1024EdiPdEEvT1_S3_T2_lS3_lPKT0_lS4_lS3_l
		.amdhsa_group_segment_fixed_size 0
		.amdhsa_private_segment_fixed_size 0
		.amdhsa_kernarg_size 88
		.amdhsa_user_sgpr_count 6
		.amdhsa_user_sgpr_private_segment_buffer 1
		.amdhsa_user_sgpr_dispatch_ptr 0
		.amdhsa_user_sgpr_queue_ptr 0
		.amdhsa_user_sgpr_kernarg_segment_ptr 1
		.amdhsa_user_sgpr_dispatch_id 0
		.amdhsa_user_sgpr_flat_scratch_init 0
		.amdhsa_user_sgpr_kernarg_preload_length 0
		.amdhsa_user_sgpr_kernarg_preload_offset 0
		.amdhsa_user_sgpr_private_segment_size 0
		.amdhsa_uses_dynamic_stack 0
		.amdhsa_system_sgpr_private_segment_wavefront_offset 0
		.amdhsa_system_sgpr_workgroup_id_x 1
		.amdhsa_system_sgpr_workgroup_id_y 1
		.amdhsa_system_sgpr_workgroup_id_z 1
		.amdhsa_system_sgpr_workgroup_info 0
		.amdhsa_system_vgpr_workitem_id 0
		.amdhsa_next_free_vgpr 21
		.amdhsa_next_free_sgpr 36
		.amdhsa_accum_offset 24
		.amdhsa_reserve_vcc 1
		.amdhsa_reserve_flat_scratch 0
		.amdhsa_float_round_mode_32 0
		.amdhsa_float_round_mode_16_64 0
		.amdhsa_float_denorm_mode_32 3
		.amdhsa_float_denorm_mode_16_64 3
		.amdhsa_dx10_clamp 1
		.amdhsa_ieee_mode 1
		.amdhsa_fp16_overflow 0
		.amdhsa_tg_split 0
		.amdhsa_exception_fp_ieee_invalid_op 0
		.amdhsa_exception_fp_denorm_src 0
		.amdhsa_exception_fp_ieee_div_zero 0
		.amdhsa_exception_fp_ieee_overflow 0
		.amdhsa_exception_fp_ieee_underflow 0
		.amdhsa_exception_fp_ieee_inexact 0
		.amdhsa_exception_int_div_zero 0
	.end_amdhsa_kernel
	.section	.text._ZN9rocsolver6v33100L17larf_right_kernelILi1024EdiPdEEvT1_S3_T2_lS3_lPKT0_lS4_lS3_l,"axG",@progbits,_ZN9rocsolver6v33100L17larf_right_kernelILi1024EdiPdEEvT1_S3_T2_lS3_lPKT0_lS4_lS3_l,comdat
.Lfunc_end20:
	.size	_ZN9rocsolver6v33100L17larf_right_kernelILi1024EdiPdEEvT1_S3_T2_lS3_lPKT0_lS4_lS3_l, .Lfunc_end20-_ZN9rocsolver6v33100L17larf_right_kernelILi1024EdiPdEEvT1_S3_T2_lS3_lPKT0_lS4_lS3_l
                                        ; -- End function
	.section	.AMDGPU.csdata,"",@progbits
; Kernel info:
; codeLenInByte = 1456
; NumSgprs: 40
; NumVgprs: 21
; NumAgprs: 0
; TotalNumVgprs: 21
; ScratchSize: 0
; MemoryBound: 0
; FloatMode: 240
; IeeeMode: 1
; LDSByteSize: 0 bytes/workgroup (compile time only)
; SGPRBlocks: 4
; VGPRBlocks: 2
; NumSGPRsForWavesPerEU: 40
; NumVGPRsForWavesPerEU: 21
; AccumOffset: 24
; Occupancy: 8
; WaveLimiterHint : 0
; COMPUTE_PGM_RSRC2:SCRATCH_EN: 0
; COMPUTE_PGM_RSRC2:USER_SGPR: 6
; COMPUTE_PGM_RSRC2:TRAP_HANDLER: 0
; COMPUTE_PGM_RSRC2:TGID_X_EN: 1
; COMPUTE_PGM_RSRC2:TGID_Y_EN: 1
; COMPUTE_PGM_RSRC2:TGID_Z_EN: 1
; COMPUTE_PGM_RSRC2:TIDIG_COMP_CNT: 0
; COMPUTE_PGM_RSRC3_GFX90A:ACCUM_OFFSET: 5
; COMPUTE_PGM_RSRC3_GFX90A:TG_SPLIT: 0
	.section	.text._ZN9rocsolver6v33100L12subtract_tauIdPdEEviiT0_iilPT_l,"axG",@progbits,_ZN9rocsolver6v33100L12subtract_tauIdPdEEviiT0_iilPT_l,comdat
	.globl	_ZN9rocsolver6v33100L12subtract_tauIdPdEEviiT0_iilPT_l ; -- Begin function _ZN9rocsolver6v33100L12subtract_tauIdPdEEviiT0_iilPT_l
	.p2align	8
	.type	_ZN9rocsolver6v33100L12subtract_tauIdPdEEviiT0_iilPT_l,@function
_ZN9rocsolver6v33100L12subtract_tauIdPdEEviiT0_iilPT_l: ; @_ZN9rocsolver6v33100L12subtract_tauIdPdEEviiT0_iilPT_l
; %bb.0:
	s_load_dwordx2 s[12:13], s[4:5], 0x10
	s_load_dwordx4 s[0:3], s[4:5], 0x18
	s_load_dwordx4 s[8:11], s[4:5], 0x0
	s_load_dwordx2 s[14:15], s[4:5], 0x28
	v_mov_b32_e32 v2, 0
	s_waitcnt lgkmcnt(0)
	s_ashr_i32 s5, s12, 31
	s_mul_i32 s1, s6, s1
	s_mul_hi_u32 s7, s6, s0
	s_add_i32 s1, s7, s1
	s_mul_i32 s0, s6, s0
	s_lshl_b64 s[0:1], s[0:1], 3
	s_mov_b32 s4, s12
	s_add_u32 s7, s10, s0
	s_addc_u32 s10, s11, s1
	s_lshl_b64 s[0:1], s[4:5], 3
	s_add_u32 s4, s7, s0
	s_addc_u32 s5, s10, s1
	s_mul_i32 s0, s6, s15
	s_mul_hi_u32 s1, s6, s14
	s_add_i32 s1, s1, s0
	s_mul_i32 s0, s6, s14
	s_lshl_b64 s[0:1], s[0:1], 3
	s_add_u32 s0, s2, s0
	s_addc_u32 s1, s3, s1
	s_load_dwordx2 s[2:3], s[0:1], 0x0
	s_waitcnt lgkmcnt(0)
	s_xor_b32 s6, s3, 0x80000000
	v_mov_b32_e32 v0, s2
	v_mov_b32_e32 v1, s6
	global_store_dwordx2 v2, v[0:1], s[0:1]
	s_mul_i32 s0, s13, s9
	s_add_i32 s0, s0, s8
	s_ashr_i32 s1, s0, 31
	s_lshl_b64 s[0:1], s[0:1], 3
	s_add_u32 s0, s4, s0
	v_add_f64 v[0:1], -s[2:3], 1.0
	s_addc_u32 s1, s5, s1
	global_store_dwordx2 v2, v[0:1], s[0:1]
	s_endpgm
	.section	.rodata,"a",@progbits
	.p2align	6, 0x0
	.amdhsa_kernel _ZN9rocsolver6v33100L12subtract_tauIdPdEEviiT0_iilPT_l
		.amdhsa_group_segment_fixed_size 0
		.amdhsa_private_segment_fixed_size 0
		.amdhsa_kernarg_size 48
		.amdhsa_user_sgpr_count 6
		.amdhsa_user_sgpr_private_segment_buffer 1
		.amdhsa_user_sgpr_dispatch_ptr 0
		.amdhsa_user_sgpr_queue_ptr 0
		.amdhsa_user_sgpr_kernarg_segment_ptr 1
		.amdhsa_user_sgpr_dispatch_id 0
		.amdhsa_user_sgpr_flat_scratch_init 0
		.amdhsa_user_sgpr_kernarg_preload_length 0
		.amdhsa_user_sgpr_kernarg_preload_offset 0
		.amdhsa_user_sgpr_private_segment_size 0
		.amdhsa_uses_dynamic_stack 0
		.amdhsa_system_sgpr_private_segment_wavefront_offset 0
		.amdhsa_system_sgpr_workgroup_id_x 1
		.amdhsa_system_sgpr_workgroup_id_y 0
		.amdhsa_system_sgpr_workgroup_id_z 0
		.amdhsa_system_sgpr_workgroup_info 0
		.amdhsa_system_vgpr_workitem_id 0
		.amdhsa_next_free_vgpr 3
		.amdhsa_next_free_sgpr 16
		.amdhsa_accum_offset 4
		.amdhsa_reserve_vcc 0
		.amdhsa_reserve_flat_scratch 0
		.amdhsa_float_round_mode_32 0
		.amdhsa_float_round_mode_16_64 0
		.amdhsa_float_denorm_mode_32 3
		.amdhsa_float_denorm_mode_16_64 3
		.amdhsa_dx10_clamp 1
		.amdhsa_ieee_mode 1
		.amdhsa_fp16_overflow 0
		.amdhsa_tg_split 0
		.amdhsa_exception_fp_ieee_invalid_op 0
		.amdhsa_exception_fp_denorm_src 0
		.amdhsa_exception_fp_ieee_div_zero 0
		.amdhsa_exception_fp_ieee_overflow 0
		.amdhsa_exception_fp_ieee_underflow 0
		.amdhsa_exception_fp_ieee_inexact 0
		.amdhsa_exception_int_div_zero 0
	.end_amdhsa_kernel
	.section	.text._ZN9rocsolver6v33100L12subtract_tauIdPdEEviiT0_iilPT_l,"axG",@progbits,_ZN9rocsolver6v33100L12subtract_tauIdPdEEviiT0_iilPT_l,comdat
.Lfunc_end21:
	.size	_ZN9rocsolver6v33100L12subtract_tauIdPdEEviiT0_iilPT_l, .Lfunc_end21-_ZN9rocsolver6v33100L12subtract_tauIdPdEEviiT0_iilPT_l
                                        ; -- End function
	.section	.AMDGPU.csdata,"",@progbits
; Kernel info:
; codeLenInByte = 196
; NumSgprs: 20
; NumVgprs: 3
; NumAgprs: 0
; TotalNumVgprs: 3
; ScratchSize: 0
; MemoryBound: 0
; FloatMode: 240
; IeeeMode: 1
; LDSByteSize: 0 bytes/workgroup (compile time only)
; SGPRBlocks: 2
; VGPRBlocks: 0
; NumSGPRsForWavesPerEU: 20
; NumVGPRsForWavesPerEU: 3
; AccumOffset: 4
; Occupancy: 8
; WaveLimiterHint : 0
; COMPUTE_PGM_RSRC2:SCRATCH_EN: 0
; COMPUTE_PGM_RSRC2:USER_SGPR: 6
; COMPUTE_PGM_RSRC2:TRAP_HANDLER: 0
; COMPUTE_PGM_RSRC2:TGID_X_EN: 1
; COMPUTE_PGM_RSRC2:TGID_Y_EN: 0
; COMPUTE_PGM_RSRC2:TGID_Z_EN: 0
; COMPUTE_PGM_RSRC2:TIDIG_COMP_CNT: 0
; COMPUTE_PGM_RSRC3_GFX90A:ACCUM_OFFSET: 0
; COMPUTE_PGM_RSRC3_GFX90A:TG_SPLIT: 0
	.section	.text._ZN9rocsolver6v33100L6restauIdEEviPT_l,"axG",@progbits,_ZN9rocsolver6v33100L6restauIdEEviPT_l,comdat
	.globl	_ZN9rocsolver6v33100L6restauIdEEviPT_l ; -- Begin function _ZN9rocsolver6v33100L6restauIdEEviPT_l
	.p2align	8
	.type	_ZN9rocsolver6v33100L6restauIdEEviPT_l,@function
_ZN9rocsolver6v33100L6restauIdEEviPT_l: ; @_ZN9rocsolver6v33100L6restauIdEEviPT_l
; %bb.0:
	s_load_dword s0, s[4:5], 0x24
	s_load_dword s1, s[4:5], 0x0
	s_waitcnt lgkmcnt(0)
	s_and_b32 s0, s0, 0xffff
	s_mul_i32 s6, s6, s0
	v_add_u32_e32 v0, s6, v0
	v_cmp_gt_u32_e32 vcc, s1, v0
	s_and_saveexec_b64 s[0:1], vcc
	s_cbranch_execz .LBB22_2
; %bb.1:
	s_load_dwordx4 s[0:3], s[4:5], 0x8
	v_mov_b32_e32 v1, 0
	v_lshlrev_b64 v[0:1], 3, v[0:1]
	s_waitcnt lgkmcnt(0)
	s_mul_i32 s3, s7, s3
	s_mul_hi_u32 s4, s7, s2
	s_mul_i32 s2, s7, s2
	s_add_i32 s3, s4, s3
	s_lshl_b64 s[2:3], s[2:3], 3
	s_add_u32 s0, s0, s2
	s_addc_u32 s1, s1, s3
	v_mov_b32_e32 v2, s1
	v_add_co_u32_e32 v0, vcc, s0, v0
	v_addc_co_u32_e32 v1, vcc, v2, v1, vcc
	global_load_dwordx2 v[2:3], v[0:1], off
	s_waitcnt vmcnt(0)
	v_xor_b32_e32 v3, 0x80000000, v3
	global_store_dwordx2 v[0:1], v[2:3], off
.LBB22_2:
	s_endpgm
	.section	.rodata,"a",@progbits
	.p2align	6, 0x0
	.amdhsa_kernel _ZN9rocsolver6v33100L6restauIdEEviPT_l
		.amdhsa_group_segment_fixed_size 0
		.amdhsa_private_segment_fixed_size 0
		.amdhsa_kernarg_size 280
		.amdhsa_user_sgpr_count 6
		.amdhsa_user_sgpr_private_segment_buffer 1
		.amdhsa_user_sgpr_dispatch_ptr 0
		.amdhsa_user_sgpr_queue_ptr 0
		.amdhsa_user_sgpr_kernarg_segment_ptr 1
		.amdhsa_user_sgpr_dispatch_id 0
		.amdhsa_user_sgpr_flat_scratch_init 0
		.amdhsa_user_sgpr_kernarg_preload_length 0
		.amdhsa_user_sgpr_kernarg_preload_offset 0
		.amdhsa_user_sgpr_private_segment_size 0
		.amdhsa_uses_dynamic_stack 0
		.amdhsa_system_sgpr_private_segment_wavefront_offset 0
		.amdhsa_system_sgpr_workgroup_id_x 1
		.amdhsa_system_sgpr_workgroup_id_y 1
		.amdhsa_system_sgpr_workgroup_id_z 0
		.amdhsa_system_sgpr_workgroup_info 0
		.amdhsa_system_vgpr_workitem_id 0
		.amdhsa_next_free_vgpr 4
		.amdhsa_next_free_sgpr 8
		.amdhsa_accum_offset 4
		.amdhsa_reserve_vcc 1
		.amdhsa_reserve_flat_scratch 0
		.amdhsa_float_round_mode_32 0
		.amdhsa_float_round_mode_16_64 0
		.amdhsa_float_denorm_mode_32 3
		.amdhsa_float_denorm_mode_16_64 3
		.amdhsa_dx10_clamp 1
		.amdhsa_ieee_mode 1
		.amdhsa_fp16_overflow 0
		.amdhsa_tg_split 0
		.amdhsa_exception_fp_ieee_invalid_op 0
		.amdhsa_exception_fp_denorm_src 0
		.amdhsa_exception_fp_ieee_div_zero 0
		.amdhsa_exception_fp_ieee_overflow 0
		.amdhsa_exception_fp_ieee_underflow 0
		.amdhsa_exception_fp_ieee_inexact 0
		.amdhsa_exception_int_div_zero 0
	.end_amdhsa_kernel
	.section	.text._ZN9rocsolver6v33100L6restauIdEEviPT_l,"axG",@progbits,_ZN9rocsolver6v33100L6restauIdEEviPT_l,comdat
.Lfunc_end22:
	.size	_ZN9rocsolver6v33100L6restauIdEEviPT_l, .Lfunc_end22-_ZN9rocsolver6v33100L6restauIdEEviPT_l
                                        ; -- End function
	.section	.AMDGPU.csdata,"",@progbits
; Kernel info:
; codeLenInByte = 144
; NumSgprs: 12
; NumVgprs: 4
; NumAgprs: 0
; TotalNumVgprs: 4
; ScratchSize: 0
; MemoryBound: 0
; FloatMode: 240
; IeeeMode: 1
; LDSByteSize: 0 bytes/workgroup (compile time only)
; SGPRBlocks: 1
; VGPRBlocks: 0
; NumSGPRsForWavesPerEU: 12
; NumVGPRsForWavesPerEU: 4
; AccumOffset: 4
; Occupancy: 8
; WaveLimiterHint : 0
; COMPUTE_PGM_RSRC2:SCRATCH_EN: 0
; COMPUTE_PGM_RSRC2:USER_SGPR: 6
; COMPUTE_PGM_RSRC2:TRAP_HANDLER: 0
; COMPUTE_PGM_RSRC2:TGID_X_EN: 1
; COMPUTE_PGM_RSRC2:TGID_Y_EN: 1
; COMPUTE_PGM_RSRC2:TGID_Z_EN: 0
; COMPUTE_PGM_RSRC2:TIDIG_COMP_CNT: 0
; COMPUTE_PGM_RSRC3_GFX90A:ACCUM_OFFSET: 0
; COMPUTE_PGM_RSRC3_GFX90A:TG_SPLIT: 0
	.section	.text._ZN9rocsolver6v33100L8set_zeroIdPdEEviiT0_iil13rocblas_fill_,"axG",@progbits,_ZN9rocsolver6v33100L8set_zeroIdPdEEviiT0_iil13rocblas_fill_,comdat
	.globl	_ZN9rocsolver6v33100L8set_zeroIdPdEEviiT0_iil13rocblas_fill_ ; -- Begin function _ZN9rocsolver6v33100L8set_zeroIdPdEEviiT0_iil13rocblas_fill_
	.p2align	8
	.type	_ZN9rocsolver6v33100L8set_zeroIdPdEEviiT0_iil13rocblas_fill_,@function
_ZN9rocsolver6v33100L8set_zeroIdPdEEviiT0_iil13rocblas_fill_: ; @_ZN9rocsolver6v33100L8set_zeroIdPdEEviiT0_iil13rocblas_fill_
; %bb.0:
	s_load_dword s2, s[4:5], 0x34
	s_load_dwordx2 s[0:1], s[4:5], 0x0
	v_and_b32_e32 v1, 0x3ff, v0
	v_bfe_u32 v0, v0, 10, 10
	s_waitcnt lgkmcnt(0)
	s_lshr_b32 s3, s2, 16
	s_and_b32 s2, s2, 0xffff
	s_mul_i32 s6, s6, s2
	s_mul_i32 s7, s7, s3
	v_add_u32_e32 v2, s6, v1
	v_add_u32_e32 v0, s7, v0
	v_cmp_gt_u32_e32 vcc, s0, v2
	v_cmp_gt_u32_e64 s[0:1], s1, v0
	s_and_b64 s[0:1], vcc, s[0:1]
	s_and_saveexec_b64 s[2:3], s[0:1]
	s_cbranch_execz .LBB23_12
; %bb.1:
	s_load_dword s6, s[4:5], 0x20
	s_waitcnt lgkmcnt(0)
	s_cmpk_lt_i32 s6, 0x7a
	s_cbranch_scc1 .LBB23_4
; %bb.2:
	s_cmpk_gt_i32 s6, 0x7a
	s_cbranch_scc0 .LBB23_5
; %bb.3:
	s_cmpk_eq_i32 s6, 0x7b
	s_cselect_b64 s[0:1], -1, 0
	s_cbranch_execz .LBB23_6
	s_branch .LBB23_7
.LBB23_4:
	s_mov_b64 s[0:1], 0
	s_cbranch_execnz .LBB23_8
	s_branch .LBB23_10
.LBB23_5:
	s_mov_b64 s[0:1], 0
.LBB23_6:
	v_cmp_gt_u32_e32 vcc, v0, v2
	s_andn2_b64 s[0:1], s[0:1], exec
	s_and_b64 s[2:3], vcc, exec
	s_or_b64 s[0:1], s[0:1], s[2:3]
.LBB23_7:
	s_branch .LBB23_10
.LBB23_8:
	s_cmpk_eq_i32 s6, 0x79
	s_cbranch_scc0 .LBB23_10
; %bb.9:
	v_cmp_gt_u32_e32 vcc, v2, v0
	s_andn2_b64 s[0:1], s[0:1], exec
	s_and_b64 s[2:3], vcc, exec
	s_or_b64 s[0:1], s[0:1], s[2:3]
.LBB23_10:
	s_and_b64 exec, exec, s[0:1]
	s_cbranch_execz .LBB23_12
; %bb.11:
	s_load_dwordx4 s[0:3], s[4:5], 0x8
	s_load_dwordx2 s[6:7], s[4:5], 0x18
	s_waitcnt lgkmcnt(0)
	s_ashr_i32 s5, s2, 31
	s_mov_b32 s4, s2
	s_mul_i32 s2, s8, s7
	s_mul_hi_u32 s7, s8, s6
	s_add_i32 s7, s7, s2
	s_mul_i32 s6, s8, s6
	s_lshl_b64 s[6:7], s[6:7], 3
	s_add_u32 s2, s0, s6
	s_addc_u32 s6, s1, s7
	s_lshl_b64 s[0:1], s[4:5], 3
	s_add_u32 s2, s2, s0
	s_addc_u32 s4, s6, s1
	v_mad_u64_u32 v[0:1], s[0:1], v0, s3, v[2:3]
	v_mov_b32_e32 v1, 0
	v_lshlrev_b64 v[2:3], 3, v[0:1]
	v_mov_b32_e32 v0, s4
	v_add_co_u32_e32 v2, vcc, s2, v2
	v_addc_co_u32_e32 v3, vcc, v0, v3, vcc
	v_mov_b32_e32 v0, v1
	global_store_dwordx2 v[2:3], v[0:1], off
.LBB23_12:
	s_endpgm
	.section	.rodata,"a",@progbits
	.p2align	6, 0x0
	.amdhsa_kernel _ZN9rocsolver6v33100L8set_zeroIdPdEEviiT0_iil13rocblas_fill_
		.amdhsa_group_segment_fixed_size 0
		.amdhsa_private_segment_fixed_size 0
		.amdhsa_kernarg_size 296
		.amdhsa_user_sgpr_count 6
		.amdhsa_user_sgpr_private_segment_buffer 1
		.amdhsa_user_sgpr_dispatch_ptr 0
		.amdhsa_user_sgpr_queue_ptr 0
		.amdhsa_user_sgpr_kernarg_segment_ptr 1
		.amdhsa_user_sgpr_dispatch_id 0
		.amdhsa_user_sgpr_flat_scratch_init 0
		.amdhsa_user_sgpr_kernarg_preload_length 0
		.amdhsa_user_sgpr_kernarg_preload_offset 0
		.amdhsa_user_sgpr_private_segment_size 0
		.amdhsa_uses_dynamic_stack 0
		.amdhsa_system_sgpr_private_segment_wavefront_offset 0
		.amdhsa_system_sgpr_workgroup_id_x 1
		.amdhsa_system_sgpr_workgroup_id_y 1
		.amdhsa_system_sgpr_workgroup_id_z 1
		.amdhsa_system_sgpr_workgroup_info 0
		.amdhsa_system_vgpr_workitem_id 1
		.amdhsa_next_free_vgpr 4
		.amdhsa_next_free_sgpr 9
		.amdhsa_accum_offset 4
		.amdhsa_reserve_vcc 1
		.amdhsa_reserve_flat_scratch 0
		.amdhsa_float_round_mode_32 0
		.amdhsa_float_round_mode_16_64 0
		.amdhsa_float_denorm_mode_32 3
		.amdhsa_float_denorm_mode_16_64 3
		.amdhsa_dx10_clamp 1
		.amdhsa_ieee_mode 1
		.amdhsa_fp16_overflow 0
		.amdhsa_tg_split 0
		.amdhsa_exception_fp_ieee_invalid_op 0
		.amdhsa_exception_fp_denorm_src 0
		.amdhsa_exception_fp_ieee_div_zero 0
		.amdhsa_exception_fp_ieee_overflow 0
		.amdhsa_exception_fp_ieee_underflow 0
		.amdhsa_exception_fp_ieee_inexact 0
		.amdhsa_exception_int_div_zero 0
	.end_amdhsa_kernel
	.section	.text._ZN9rocsolver6v33100L8set_zeroIdPdEEviiT0_iil13rocblas_fill_,"axG",@progbits,_ZN9rocsolver6v33100L8set_zeroIdPdEEviiT0_iil13rocblas_fill_,comdat
.Lfunc_end23:
	.size	_ZN9rocsolver6v33100L8set_zeroIdPdEEviiT0_iil13rocblas_fill_, .Lfunc_end23-_ZN9rocsolver6v33100L8set_zeroIdPdEEviiT0_iil13rocblas_fill_
                                        ; -- End function
	.section	.AMDGPU.csdata,"",@progbits
; Kernel info:
; codeLenInByte = 316
; NumSgprs: 13
; NumVgprs: 4
; NumAgprs: 0
; TotalNumVgprs: 4
; ScratchSize: 0
; MemoryBound: 0
; FloatMode: 240
; IeeeMode: 1
; LDSByteSize: 0 bytes/workgroup (compile time only)
; SGPRBlocks: 1
; VGPRBlocks: 0
; NumSGPRsForWavesPerEU: 13
; NumVGPRsForWavesPerEU: 4
; AccumOffset: 4
; Occupancy: 8
; WaveLimiterHint : 0
; COMPUTE_PGM_RSRC2:SCRATCH_EN: 0
; COMPUTE_PGM_RSRC2:USER_SGPR: 6
; COMPUTE_PGM_RSRC2:TRAP_HANDLER: 0
; COMPUTE_PGM_RSRC2:TGID_X_EN: 1
; COMPUTE_PGM_RSRC2:TGID_Y_EN: 1
; COMPUTE_PGM_RSRC2:TGID_Z_EN: 1
; COMPUTE_PGM_RSRC2:TIDIG_COMP_CNT: 1
; COMPUTE_PGM_RSRC3_GFX90A:ACCUM_OFFSET: 0
; COMPUTE_PGM_RSRC3_GFX90A:TG_SPLIT: 0
	.section	.text._ZN9rocsolver6v33100L14set_triangularIdPdTnNSt9enable_ifIXnt18rocblas_is_complexIT_EEiE4typeELi0EEEviiT0_iilPS4_lS8_il15rocblas_direct_15rocblas_storev_b,"axG",@progbits,_ZN9rocsolver6v33100L14set_triangularIdPdTnNSt9enable_ifIXnt18rocblas_is_complexIT_EEiE4typeELi0EEEviiT0_iilPS4_lS8_il15rocblas_direct_15rocblas_storev_b,comdat
	.globl	_ZN9rocsolver6v33100L14set_triangularIdPdTnNSt9enable_ifIXnt18rocblas_is_complexIT_EEiE4typeELi0EEEviiT0_iilPS4_lS8_il15rocblas_direct_15rocblas_storev_b ; -- Begin function _ZN9rocsolver6v33100L14set_triangularIdPdTnNSt9enable_ifIXnt18rocblas_is_complexIT_EEiE4typeELi0EEEviiT0_iilPS4_lS8_il15rocblas_direct_15rocblas_storev_b
	.p2align	8
	.type	_ZN9rocsolver6v33100L14set_triangularIdPdTnNSt9enable_ifIXnt18rocblas_is_complexIT_EEiE4typeELi0EEEviiT0_iilPS4_lS8_il15rocblas_direct_15rocblas_storev_b,@function
_ZN9rocsolver6v33100L14set_triangularIdPdTnNSt9enable_ifIXnt18rocblas_is_complexIT_EEiE4typeELi0EEEviiT0_iilPS4_lS8_il15rocblas_direct_15rocblas_storev_b: ; @_ZN9rocsolver6v33100L14set_triangularIdPdTnNSt9enable_ifIXnt18rocblas_is_complexIT_EEiE4typeELi0EEEviiT0_iilPS4_lS8_il15rocblas_direct_15rocblas_storev_b
; %bb.0:
	s_load_dword s0, s[4:5], 0x64
	s_load_dwordx2 s[20:21], s[4:5], 0x0
	v_and_b32_e32 v1, 0x3ff, v0
	v_bfe_u32 v0, v0, 10, 10
	s_waitcnt lgkmcnt(0)
	s_lshr_b32 s1, s0, 16
	s_and_b32 s0, s0, 0xffff
	s_mul_i32 s6, s6, s0
	s_mul_i32 s7, s7, s1
	v_add_u32_e32 v2, s6, v1
	v_add_u32_e32 v0, s7, v0
	v_max_u32_e32 v1, v2, v0
	v_cmp_gt_u32_e32 vcc, s21, v1
	s_and_saveexec_b64 s[0:1], vcc
	s_cbranch_execz .LBB24_36
; %bb.1:
	s_load_dwordx8 s[12:19], s[4:5], 0x18
	s_load_dword s22, s[4:5], 0x38
	s_load_dwordx2 s[0:1], s[4:5], 0x40
	v_cmp_ne_u32_e32 vcc, v0, v2
	s_waitcnt lgkmcnt(0)
	s_mul_i32 s3, s8, s17
	s_mul_hi_u32 s6, s8, s16
	s_mul_i32 s2, s8, s16
	s_add_i32 s3, s6, s3
	s_lshl_b64 s[2:3], s[2:3], 3
	s_add_u32 s16, s14, s2
	s_mul_i32 s1, s8, s1
	s_mul_hi_u32 s2, s8, s0
	s_addc_u32 s17, s15, s3
	s_add_i32 s1, s2, s1
	s_mul_i32 s0, s8, s0
	s_lshl_b64 s[0:1], s[0:1], 3
	s_add_u32 s14, s18, s0
	s_addc_u32 s15, s19, s1
	s_and_saveexec_b64 s[0:1], vcc
	s_xor_b64 s[10:11], exec, s[0:1]
	s_cbranch_execz .LBB24_34
; %bb.2:
	s_load_dwordx4 s[0:3], s[4:5], 0x8
	s_mul_i32 s9, s8, s13
	s_mul_hi_u32 s13, s8, s12
	s_add_i32 s9, s13, s9
	s_mul_i32 s8, s8, s12
	s_load_dwordx4 s[4:7], s[4:5], 0x48
	s_waitcnt lgkmcnt(0)
	s_ashr_i32 s19, s2, 31
	s_lshl_b64 s[8:9], s[8:9], 3
	s_mov_b32 s18, s2
	s_add_u32 s2, s0, s8
	s_addc_u32 s7, s1, s9
	s_lshl_b64 s[0:1], s[18:19], 3
	s_add_u32 s2, s2, s0
	s_addc_u32 s12, s7, s1
	s_bitcmp1_b32 s6, 0
	s_cselect_b64 s[0:1], -1, 0
	s_xor_b64 s[0:1], s[0:1], -1
	s_mov_b64 s[6:7], -1
	s_cmpk_lg_i32 s4, 0xab
	v_mov_b32_e32 v3, 0
	s_cbranch_scc0 .LBB24_18
; %bb.3:
	v_cmp_le_u32_e32 vcc, v0, v2
	s_and_saveexec_b64 s[6:7], vcc
	s_xor_b64 s[6:7], exec, s[6:7]
	s_cbranch_execz .LBB24_5
; %bb.4:
	v_mad_u64_u32 v[4:5], s[8:9], v2, s22, 0
	s_ashr_i32 s4, s22, 31
	v_mov_b32_e32 v6, v5
	v_mad_u64_u32 v[6:7], s[8:9], v2, s4, v[6:7]
	v_mov_b32_e32 v5, v6
	v_lshlrev_b64 v[4:5], 3, v[4:5]
	v_mov_b32_e32 v1, 0
	v_mov_b32_e32 v6, s15
	v_add_co_u32_e32 v7, vcc, s14, v4
	v_addc_co_u32_e32 v6, vcc, v6, v5, vcc
	v_lshlrev_b64 v[4:5], 3, v[0:1]
	v_add_co_u32_e32 v4, vcc, v7, v4
	v_addc_co_u32_e32 v5, vcc, v6, v5, vcc
	v_mov_b32_e32 v6, v1
	v_mov_b32_e32 v7, v1
	global_store_dwordx2 v[4:5], v[6:7], off
.LBB24_5:
	s_andn2_saveexec_b64 s[6:7], s[6:7]
	s_cbranch_execz .LBB24_17
; %bb.6:
	v_lshlrev_b64 v[4:5], 3, v[2:3]
	v_mov_b32_e32 v1, s17
	v_add_co_u32_e32 v4, vcc, s16, v4
	v_addc_co_u32_e32 v5, vcc, v1, v5, vcc
	global_load_dwordx2 v[4:5], v[4:5], off
	s_cmpk_lg_i32 s5, 0xb5
	s_mov_b64 s[8:9], -1
	s_cbranch_scc0 .LBB24_12
; %bb.7:
	v_mov_b32_e32 v1, 0
	s_andn2_b64 vcc, exec, s[0:1]
	v_lshlrev_b64 v[6:7], 3, v[0:1]
	s_cbranch_vccnz .LBB24_9
; %bb.8:
	s_sub_i32 s4, s20, s21
	v_add_u32_e32 v1, s4, v2
	v_mad_u64_u32 v[8:9], s[8:9], v1, s3, 0
	s_ashr_i32 s4, s3, 31
	v_mov_b32_e32 v10, v9
	v_mad_u64_u32 v[10:11], s[8:9], v1, s4, v[10:11]
	v_mov_b32_e32 v9, v10
	v_lshlrev_b64 v[8:9], 3, v[8:9]
	v_mov_b32_e32 v1, s12
	v_add_co_u32_e32 v8, vcc, s2, v8
	v_addc_co_u32_e32 v1, vcc, v1, v9, vcc
	v_add_co_u32_e32 v8, vcc, v8, v6
	v_addc_co_u32_e32 v9, vcc, v1, v7, vcc
	global_load_dwordx2 v[8:9], v[8:9], off
	v_mad_u64_u32 v[10:11], s[8:9], v2, s22, 0
	s_ashr_i32 s4, s22, 31
	v_mov_b32_e32 v12, v11
	v_mad_u64_u32 v[12:13], s[8:9], v2, s4, v[12:13]
	v_mov_b32_e32 v11, v12
	v_lshlrev_b64 v[10:11], 3, v[10:11]
	v_mov_b32_e32 v1, s15
	v_add_co_u32_e32 v10, vcc, s14, v10
	v_addc_co_u32_e32 v1, vcc, v1, v11, vcc
	v_add_co_u32_e32 v10, vcc, v10, v6
	v_addc_co_u32_e32 v11, vcc, v1, v7, vcc
	s_mov_b64 s[8:9], 0
	s_waitcnt vmcnt(0)
	v_mul_f64 v[8:9], v[8:9], -v[4:5]
	global_store_dwordx2 v[10:11], v[8:9], off
.LBB24_9:
	s_andn2_b64 vcc, exec, s[8:9]
	s_cbranch_vccnz .LBB24_11
; %bb.10:
	v_mad_u64_u32 v[8:9], s[8:9], v2, s22, 0
	s_ashr_i32 s4, s22, 31
	v_mov_b32_e32 v10, v9
	v_mad_u64_u32 v[10:11], s[8:9], v2, s4, v[10:11]
	v_mov_b32_e32 v9, v10
	v_lshlrev_b64 v[8:9], 3, v[8:9]
	v_mov_b32_e32 v1, s15
	v_add_co_u32_e32 v8, vcc, s14, v8
	v_addc_co_u32_e32 v1, vcc, v1, v9, vcc
	v_add_co_u32_e32 v8, vcc, v8, v6
	s_sub_i32 s4, s20, s21
	v_addc_co_u32_e32 v9, vcc, v1, v7, vcc
	v_add_u32_e32 v1, s4, v2
	v_mad_u64_u32 v[12:13], s[8:9], v1, s3, 0
	s_ashr_i32 s4, s3, 31
	v_mov_b32_e32 v14, v13
	v_mad_u64_u32 v[14:15], s[8:9], v1, s4, v[14:15]
	v_mov_b32_e32 v13, v14
	v_lshlrev_b64 v[12:13], 3, v[12:13]
	v_mov_b32_e32 v1, s12
	v_add_co_u32_e32 v12, vcc, s2, v12
	v_addc_co_u32_e32 v1, vcc, v1, v13, vcc
	v_add_co_u32_e32 v6, vcc, v12, v6
	v_addc_co_u32_e32 v7, vcc, v1, v7, vcc
	global_load_dwordx2 v[10:11], v[8:9], off
	s_nop 0
	global_load_dwordx2 v[6:7], v[6:7], off
	s_waitcnt vmcnt(0)
	v_add_f64 v[6:7], v[10:11], v[6:7]
	v_mul_f64 v[6:7], v[6:7], -v[4:5]
	global_store_dwordx2 v[8:9], v[6:7], off
.LBB24_11:
	s_mov_b64 s[8:9], 0
.LBB24_12:
	s_andn2_b64 vcc, exec, s[8:9]
	s_cbranch_vccnz .LBB24_17
; %bb.13:
	s_andn2_b64 vcc, exec, s[0:1]
	s_mov_b64 s[8:9], -1
	s_cbranch_vccnz .LBB24_15
; %bb.14:
	s_sub_i32 s4, s20, s21
	v_mad_u64_u32 v[8:9], s[8:9], v0, s3, 0
	v_add_u32_e32 v6, s4, v2
	s_ashr_i32 s4, s3, 31
	v_mov_b32_e32 v10, v9
	v_mad_u64_u32 v[10:11], s[8:9], v0, s4, v[10:11]
	v_mov_b32_e32 v9, v10
	v_lshlrev_b64 v[8:9], 3, v[8:9]
	v_mov_b32_e32 v7, 0
	v_mov_b32_e32 v1, s12
	v_add_co_u32_e32 v10, vcc, s2, v8
	v_addc_co_u32_e32 v1, vcc, v1, v9, vcc
	v_lshlrev_b64 v[8:9], 3, v[6:7]
	v_add_co_u32_e32 v8, vcc, v10, v8
	v_addc_co_u32_e32 v9, vcc, v1, v9, vcc
	global_load_dwordx2 v[8:9], v[8:9], off
	v_mad_u64_u32 v[10:11], s[8:9], v2, s22, 0
	s_ashr_i32 s4, s22, 31
	v_mov_b32_e32 v6, v11
	v_mov_b32_e32 v1, v7
	v_mad_u64_u32 v[6:7], s[8:9], v2, s4, v[6:7]
	v_mov_b32_e32 v11, v6
	v_lshlrev_b64 v[6:7], 3, v[10:11]
	v_mov_b32_e32 v14, s15
	v_lshlrev_b64 v[12:13], 3, v[0:1]
	v_add_co_u32_e32 v1, vcc, s14, v6
	v_addc_co_u32_e32 v7, vcc, v14, v7, vcc
	v_add_co_u32_e32 v6, vcc, v1, v12
	v_addc_co_u32_e32 v7, vcc, v7, v13, vcc
	s_mov_b64 s[8:9], 0
	s_waitcnt vmcnt(0)
	v_mul_f64 v[8:9], v[8:9], -v[4:5]
	global_store_dwordx2 v[6:7], v[8:9], off
.LBB24_15:
	s_andn2_b64 vcc, exec, s[8:9]
	s_cbranch_vccnz .LBB24_17
; %bb.16:
	v_mad_u64_u32 v[6:7], s[8:9], v2, s22, 0
	s_ashr_i32 s4, s22, 31
	v_mov_b32_e32 v8, v7
	v_mad_u64_u32 v[8:9], s[8:9], v2, s4, v[8:9]
	v_mov_b32_e32 v7, v8
	v_lshlrev_b64 v[6:7], 3, v[6:7]
	s_sub_i32 s4, s20, s21
	v_mad_u64_u32 v[12:13], s[8:9], v0, s3, 0
	v_mov_b32_e32 v1, 0
	v_mov_b32_e32 v8, s15
	v_add_co_u32_e32 v9, vcc, s14, v6
	v_add_u32_e32 v10, s4, v2
	s_ashr_i32 s4, s3, 31
	v_mov_b32_e32 v14, v13
	v_addc_co_u32_e32 v8, vcc, v8, v7, vcc
	v_lshlrev_b64 v[6:7], 3, v[0:1]
	v_mad_u64_u32 v[14:15], s[8:9], v0, s4, v[14:15]
	v_add_co_u32_e32 v6, vcc, v9, v6
	v_mov_b32_e32 v13, v14
	v_addc_co_u32_e32 v7, vcc, v8, v7, vcc
	v_lshlrev_b64 v[12:13], 3, v[12:13]
	v_mov_b32_e32 v11, v1
	v_mov_b32_e32 v1, s12
	v_add_co_u32_e32 v12, vcc, s2, v12
	v_addc_co_u32_e32 v1, vcc, v1, v13, vcc
	v_lshlrev_b64 v[10:11], 3, v[10:11]
	v_add_co_u32_e32 v10, vcc, v12, v10
	v_addc_co_u32_e32 v11, vcc, v1, v11, vcc
	global_load_dwordx2 v[8:9], v[6:7], off
	s_nop 0
	global_load_dwordx2 v[10:11], v[10:11], off
	s_waitcnt vmcnt(0)
	v_add_f64 v[8:9], v[8:9], v[10:11]
	v_mul_f64 v[4:5], v[8:9], -v[4:5]
	global_store_dwordx2 v[6:7], v[4:5], off
.LBB24_17:
	s_or_b64 exec, exec, s[6:7]
	s_mov_b64 s[6:7], 0
.LBB24_18:
	s_andn2_b64 vcc, exec, s[6:7]
	s_cbranch_vccnz .LBB24_34
; %bb.19:
	v_cmp_ge_u32_e32 vcc, v0, v2
	s_and_saveexec_b64 s[6:7], vcc
	s_xor_b64 s[6:7], exec, s[6:7]
	s_cbranch_execz .LBB24_21
; %bb.20:
	s_waitcnt vmcnt(0)
	v_mad_u64_u32 v[4:5], s[8:9], v2, s22, 0
	s_ashr_i32 s4, s22, 31
	v_mov_b32_e32 v6, v5
	v_mad_u64_u32 v[2:3], s[8:9], v2, s4, v[6:7]
	v_mov_b32_e32 v5, v2
	v_lshlrev_b64 v[2:3], 3, v[4:5]
	v_mov_b32_e32 v1, 0
	v_mov_b32_e32 v4, s15
	v_add_co_u32_e32 v5, vcc, s14, v2
	v_addc_co_u32_e32 v4, vcc, v4, v3, vcc
	v_lshlrev_b64 v[2:3], 3, v[0:1]
	v_add_co_u32_e32 v2, vcc, v5, v2
	v_addc_co_u32_e32 v3, vcc, v4, v3, vcc
	v_mov_b32_e32 v0, v1
	global_store_dwordx2 v[2:3], v[0:1], off
                                        ; implicit-def: $vgpr2_vgpr3
                                        ; implicit-def: $vgpr0
.LBB24_21:
	s_andn2_saveexec_b64 s[6:7], s[6:7]
	s_cbranch_execz .LBB24_33
; %bb.22:
	s_waitcnt vmcnt(0)
	v_lshlrev_b64 v[4:5], 3, v[2:3]
	v_mov_b32_e32 v1, s17
	v_add_co_u32_e32 v6, vcc, s16, v4
	v_addc_co_u32_e32 v7, vcc, v1, v5, vcc
	global_load_dwordx2 v[6:7], v[6:7], off
	v_cndmask_b32_e64 v3, 0, 1, s[0:1]
	s_cmpk_lg_i32 s5, 0xb5
	v_mov_b32_e32 v1, 0
	s_mov_b64 s[4:5], -1
	v_cmp_ne_u32_e64 s[0:1], 1, v3
	s_cbranch_scc0 .LBB24_28
; %bb.23:
	s_and_b64 vcc, exec, s[0:1]
	s_cbranch_vccnz .LBB24_25
; %bb.24:
	v_mad_u64_u32 v[8:9], s[4:5], v2, s3, 0
	s_ashr_i32 s8, s3, 31
	v_mov_b32_e32 v10, v9
	v_mad_u64_u32 v[10:11], s[4:5], v2, s8, v[10:11]
	v_mov_b32_e32 v9, v10
	v_lshlrev_b64 v[8:9], 3, v[8:9]
	v_mov_b32_e32 v3, s12
	v_add_co_u32_e32 v10, vcc, s2, v8
	v_addc_co_u32_e32 v3, vcc, v3, v9, vcc
	v_lshlrev_b64 v[8:9], 3, v[0:1]
	v_add_co_u32_e32 v10, vcc, v10, v8
	v_addc_co_u32_e32 v11, vcc, v3, v9, vcc
	global_load_dwordx2 v[10:11], v[10:11], off
	v_mad_u64_u32 v[12:13], s[4:5], v2, s22, 0
	s_ashr_i32 s8, s22, 31
	v_mov_b32_e32 v14, v13
	v_mad_u64_u32 v[14:15], s[4:5], v2, s8, v[14:15]
	v_mov_b32_e32 v13, v14
	v_lshlrev_b64 v[12:13], 3, v[12:13]
	v_mov_b32_e32 v3, s15
	v_add_co_u32_e32 v12, vcc, s14, v12
	v_addc_co_u32_e32 v3, vcc, v3, v13, vcc
	v_add_co_u32_e32 v8, vcc, v12, v8
	v_addc_co_u32_e32 v9, vcc, v3, v9, vcc
	s_mov_b64 s[4:5], 0
	s_waitcnt vmcnt(0)
	v_mul_f64 v[10:11], v[10:11], -v[6:7]
	global_store_dwordx2 v[8:9], v[10:11], off
.LBB24_25:
	s_andn2_b64 vcc, exec, s[4:5]
	s_cbranch_vccnz .LBB24_27
; %bb.26:
	v_mad_u64_u32 v[8:9], s[4:5], v2, s22, 0
	s_ashr_i32 s8, s22, 31
	v_mov_b32_e32 v10, v9
	v_mad_u64_u32 v[10:11], s[4:5], v2, s8, v[10:11]
	v_mov_b32_e32 v9, v10
	v_lshlrev_b64 v[8:9], 3, v[8:9]
	v_mad_u64_u32 v[14:15], s[4:5], v2, s3, 0
	v_mov_b32_e32 v3, s15
	v_add_co_u32_e32 v10, vcc, s14, v8
	s_ashr_i32 s8, s3, 31
	v_mov_b32_e32 v16, v15
	v_addc_co_u32_e32 v3, vcc, v3, v9, vcc
	v_lshlrev_b64 v[8:9], 3, v[0:1]
	v_mad_u64_u32 v[16:17], s[4:5], v2, s8, v[16:17]
	v_add_co_u32_e32 v10, vcc, v10, v8
	v_mov_b32_e32 v15, v16
	v_addc_co_u32_e32 v11, vcc, v3, v9, vcc
	v_lshlrev_b64 v[14:15], 3, v[14:15]
	v_mov_b32_e32 v3, s12
	v_add_co_u32_e32 v14, vcc, s2, v14
	v_addc_co_u32_e32 v3, vcc, v3, v15, vcc
	v_add_co_u32_e32 v8, vcc, v14, v8
	v_addc_co_u32_e32 v9, vcc, v3, v9, vcc
	global_load_dwordx2 v[12:13], v[10:11], off
	s_nop 0
	global_load_dwordx2 v[8:9], v[8:9], off
	s_waitcnt vmcnt(0)
	v_add_f64 v[8:9], v[12:13], v[8:9]
	v_mul_f64 v[8:9], v[8:9], -v[6:7]
	global_store_dwordx2 v[10:11], v[8:9], off
.LBB24_27:
	s_mov_b64 s[4:5], 0
.LBB24_28:
	s_andn2_b64 vcc, exec, s[4:5]
	s_cbranch_vccnz .LBB24_33
; %bb.29:
	s_mov_b64 s[4:5], -1
	s_and_b64 vcc, exec, s[0:1]
	v_lshlrev_b64 v[8:9], 3, v[0:1]
	s_cbranch_vccnz .LBB24_31
; %bb.30:
	v_mad_u64_u32 v[10:11], s[0:1], v0, s3, 0
	s_ashr_i32 s4, s3, 31
	v_mov_b32_e32 v12, v11
	v_mad_u64_u32 v[12:13], s[0:1], v0, s4, v[12:13]
	v_mov_b32_e32 v11, v12
	v_lshlrev_b64 v[10:11], 3, v[10:11]
	v_mov_b32_e32 v1, s12
	v_add_co_u32_e32 v3, vcc, s2, v10
	v_addc_co_u32_e32 v1, vcc, v1, v11, vcc
	v_add_co_u32_e32 v10, vcc, v3, v4
	v_addc_co_u32_e32 v11, vcc, v1, v5, vcc
	global_load_dwordx2 v[10:11], v[10:11], off
	v_mad_u64_u32 v[12:13], s[0:1], v2, s22, 0
	s_ashr_i32 s4, s22, 31
	v_mov_b32_e32 v14, v13
	v_mad_u64_u32 v[14:15], s[0:1], v2, s4, v[14:15]
	v_mov_b32_e32 v13, v14
	v_lshlrev_b64 v[12:13], 3, v[12:13]
	v_mov_b32_e32 v1, s15
	v_add_co_u32_e32 v3, vcc, s14, v12
	v_addc_co_u32_e32 v1, vcc, v1, v13, vcc
	v_add_co_u32_e32 v12, vcc, v3, v8
	v_addc_co_u32_e32 v13, vcc, v1, v9, vcc
	s_mov_b64 s[4:5], 0
	s_waitcnt vmcnt(0)
	v_mul_f64 v[10:11], v[10:11], -v[6:7]
	global_store_dwordx2 v[12:13], v[10:11], off
.LBB24_31:
	s_andn2_b64 vcc, exec, s[4:5]
	s_cbranch_vccnz .LBB24_33
; %bb.32:
	v_mad_u64_u32 v[10:11], s[0:1], v2, s22, 0
	s_ashr_i32 s4, s22, 31
	v_mov_b32_e32 v12, v11
	v_mad_u64_u32 v[2:3], s[0:1], v2, s4, v[12:13]
	v_mov_b32_e32 v11, v2
	v_lshlrev_b64 v[2:3], 3, v[10:11]
	v_mov_b32_e32 v1, s15
	v_add_co_u32_e32 v2, vcc, s14, v2
	v_addc_co_u32_e32 v1, vcc, v1, v3, vcc
	v_mad_u64_u32 v[10:11], s[0:1], v0, s3, 0
	v_add_co_u32_e32 v2, vcc, v2, v8
	s_ashr_i32 s4, s3, 31
	v_mov_b32_e32 v12, v11
	v_addc_co_u32_e32 v3, vcc, v1, v9, vcc
	v_mad_u64_u32 v[0:1], s[0:1], v0, s4, v[12:13]
	v_mov_b32_e32 v11, v0
	v_lshlrev_b64 v[0:1], 3, v[10:11]
	v_mov_b32_e32 v10, s12
	v_add_co_u32_e32 v0, vcc, s2, v0
	v_addc_co_u32_e32 v1, vcc, v10, v1, vcc
	v_add_co_u32_e32 v0, vcc, v0, v4
	v_addc_co_u32_e32 v1, vcc, v1, v5, vcc
	global_load_dwordx2 v[8:9], v[2:3], off
	s_nop 0
	global_load_dwordx2 v[0:1], v[0:1], off
	s_waitcnt vmcnt(0)
	v_add_f64 v[0:1], v[8:9], v[0:1]
	v_mul_f64 v[0:1], v[0:1], -v[6:7]
	global_store_dwordx2 v[2:3], v[0:1], off
.LBB24_33:
	s_or_b64 exec, exec, s[6:7]
                                        ; implicit-def: $vgpr2
.LBB24_34:
	s_andn2_saveexec_b64 s[0:1], s[10:11]
	s_cbranch_execz .LBB24_36
; %bb.35:
	v_mov_b32_e32 v3, 0
	v_lshlrev_b64 v[0:1], 3, v[2:3]
	v_mov_b32_e32 v3, s17
	s_waitcnt vmcnt(0)
	v_add_co_u32_e32 v4, vcc, s16, v0
	v_addc_co_u32_e32 v5, vcc, v3, v1, vcc
	global_load_dwordx2 v[4:5], v[4:5], off
	v_mad_u64_u32 v[6:7], s[0:1], v2, s22, 0
	s_ashr_i32 s2, s22, 31
	v_mov_b32_e32 v8, v7
	v_mad_u64_u32 v[2:3], s[0:1], v2, s2, v[8:9]
	v_mov_b32_e32 v7, v2
	v_lshlrev_b64 v[2:3], 3, v[6:7]
	v_mov_b32_e32 v6, s15
	v_add_co_u32_e32 v2, vcc, s14, v2
	v_addc_co_u32_e32 v3, vcc, v6, v3, vcc
	v_add_co_u32_e32 v0, vcc, v2, v0
	v_addc_co_u32_e32 v1, vcc, v3, v1, vcc
	s_waitcnt vmcnt(0)
	global_store_dwordx2 v[0:1], v[4:5], off
.LBB24_36:
	s_endpgm
	.section	.rodata,"a",@progbits
	.p2align	6, 0x0
	.amdhsa_kernel _ZN9rocsolver6v33100L14set_triangularIdPdTnNSt9enable_ifIXnt18rocblas_is_complexIT_EEiE4typeELi0EEEviiT0_iilPS4_lS8_il15rocblas_direct_15rocblas_storev_b
		.amdhsa_group_segment_fixed_size 0
		.amdhsa_private_segment_fixed_size 0
		.amdhsa_kernarg_size 344
		.amdhsa_user_sgpr_count 6
		.amdhsa_user_sgpr_private_segment_buffer 1
		.amdhsa_user_sgpr_dispatch_ptr 0
		.amdhsa_user_sgpr_queue_ptr 0
		.amdhsa_user_sgpr_kernarg_segment_ptr 1
		.amdhsa_user_sgpr_dispatch_id 0
		.amdhsa_user_sgpr_flat_scratch_init 0
		.amdhsa_user_sgpr_kernarg_preload_length 0
		.amdhsa_user_sgpr_kernarg_preload_offset 0
		.amdhsa_user_sgpr_private_segment_size 0
		.amdhsa_uses_dynamic_stack 0
		.amdhsa_system_sgpr_private_segment_wavefront_offset 0
		.amdhsa_system_sgpr_workgroup_id_x 1
		.amdhsa_system_sgpr_workgroup_id_y 1
		.amdhsa_system_sgpr_workgroup_id_z 1
		.amdhsa_system_sgpr_workgroup_info 0
		.amdhsa_system_vgpr_workitem_id 1
		.amdhsa_next_free_vgpr 18
		.amdhsa_next_free_sgpr 23
		.amdhsa_accum_offset 20
		.amdhsa_reserve_vcc 1
		.amdhsa_reserve_flat_scratch 0
		.amdhsa_float_round_mode_32 0
		.amdhsa_float_round_mode_16_64 0
		.amdhsa_float_denorm_mode_32 3
		.amdhsa_float_denorm_mode_16_64 3
		.amdhsa_dx10_clamp 1
		.amdhsa_ieee_mode 1
		.amdhsa_fp16_overflow 0
		.amdhsa_tg_split 0
		.amdhsa_exception_fp_ieee_invalid_op 0
		.amdhsa_exception_fp_denorm_src 0
		.amdhsa_exception_fp_ieee_div_zero 0
		.amdhsa_exception_fp_ieee_overflow 0
		.amdhsa_exception_fp_ieee_underflow 0
		.amdhsa_exception_fp_ieee_inexact 0
		.amdhsa_exception_int_div_zero 0
	.end_amdhsa_kernel
	.section	.text._ZN9rocsolver6v33100L14set_triangularIdPdTnNSt9enable_ifIXnt18rocblas_is_complexIT_EEiE4typeELi0EEEviiT0_iilPS4_lS8_il15rocblas_direct_15rocblas_storev_b,"axG",@progbits,_ZN9rocsolver6v33100L14set_triangularIdPdTnNSt9enable_ifIXnt18rocblas_is_complexIT_EEiE4typeELi0EEEviiT0_iilPS4_lS8_il15rocblas_direct_15rocblas_storev_b,comdat
.Lfunc_end24:
	.size	_ZN9rocsolver6v33100L14set_triangularIdPdTnNSt9enable_ifIXnt18rocblas_is_complexIT_EEiE4typeELi0EEEviiT0_iilPS4_lS8_il15rocblas_direct_15rocblas_storev_b, .Lfunc_end24-_ZN9rocsolver6v33100L14set_triangularIdPdTnNSt9enable_ifIXnt18rocblas_is_complexIT_EEiE4typeELi0EEEviiT0_iilPS4_lS8_il15rocblas_direct_15rocblas_storev_b
                                        ; -- End function
	.section	.AMDGPU.csdata,"",@progbits
; Kernel info:
; codeLenInByte = 2160
; NumSgprs: 27
; NumVgprs: 18
; NumAgprs: 0
; TotalNumVgprs: 18
; ScratchSize: 0
; MemoryBound: 0
; FloatMode: 240
; IeeeMode: 1
; LDSByteSize: 0 bytes/workgroup (compile time only)
; SGPRBlocks: 3
; VGPRBlocks: 2
; NumSGPRsForWavesPerEU: 27
; NumVGPRsForWavesPerEU: 18
; AccumOffset: 20
; Occupancy: 8
; WaveLimiterHint : 0
; COMPUTE_PGM_RSRC2:SCRATCH_EN: 0
; COMPUTE_PGM_RSRC2:USER_SGPR: 6
; COMPUTE_PGM_RSRC2:TRAP_HANDLER: 0
; COMPUTE_PGM_RSRC2:TGID_X_EN: 1
; COMPUTE_PGM_RSRC2:TGID_Y_EN: 1
; COMPUTE_PGM_RSRC2:TGID_Z_EN: 1
; COMPUTE_PGM_RSRC2:TIDIG_COMP_CNT: 1
; COMPUTE_PGM_RSRC3_GFX90A:ACCUM_OFFSET: 4
; COMPUTE_PGM_RSRC3_GFX90A:TG_SPLIT: 0
	.section	.text._ZN9rocsolver6v33100L7set_tauIdEEviPT_l,"axG",@progbits,_ZN9rocsolver6v33100L7set_tauIdEEviPT_l,comdat
	.globl	_ZN9rocsolver6v33100L7set_tauIdEEviPT_l ; -- Begin function _ZN9rocsolver6v33100L7set_tauIdEEviPT_l
	.p2align	8
	.type	_ZN9rocsolver6v33100L7set_tauIdEEviPT_l,@function
_ZN9rocsolver6v33100L7set_tauIdEEviPT_l: ; @_ZN9rocsolver6v33100L7set_tauIdEEviPT_l
; %bb.0:
	s_load_dword s0, s[4:5], 0x24
	s_load_dword s1, s[4:5], 0x0
	s_waitcnt lgkmcnt(0)
	s_and_b32 s0, s0, 0xffff
	s_mul_i32 s6, s6, s0
	v_add_u32_e32 v0, s6, v0
	v_cmp_gt_u32_e32 vcc, s1, v0
	s_and_saveexec_b64 s[0:1], vcc
	s_cbranch_execz .LBB25_2
; %bb.1:
	s_load_dwordx4 s[0:3], s[4:5], 0x8
	v_mov_b32_e32 v1, 0
	v_lshlrev_b64 v[0:1], 3, v[0:1]
	s_waitcnt lgkmcnt(0)
	s_mul_i32 s3, s7, s3
	s_mul_hi_u32 s4, s7, s2
	s_mul_i32 s2, s7, s2
	s_add_i32 s3, s4, s3
	s_lshl_b64 s[2:3], s[2:3], 3
	s_add_u32 s0, s0, s2
	s_addc_u32 s1, s1, s3
	v_mov_b32_e32 v2, s1
	v_add_co_u32_e32 v0, vcc, s0, v0
	v_addc_co_u32_e32 v1, vcc, v2, v1, vcc
	global_load_dwordx2 v[2:3], v[0:1], off
	s_waitcnt vmcnt(0)
	v_xor_b32_e32 v3, 0x80000000, v3
	global_store_dwordx2 v[0:1], v[2:3], off
.LBB25_2:
	s_endpgm
	.section	.rodata,"a",@progbits
	.p2align	6, 0x0
	.amdhsa_kernel _ZN9rocsolver6v33100L7set_tauIdEEviPT_l
		.amdhsa_group_segment_fixed_size 0
		.amdhsa_private_segment_fixed_size 0
		.amdhsa_kernarg_size 280
		.amdhsa_user_sgpr_count 6
		.amdhsa_user_sgpr_private_segment_buffer 1
		.amdhsa_user_sgpr_dispatch_ptr 0
		.amdhsa_user_sgpr_queue_ptr 0
		.amdhsa_user_sgpr_kernarg_segment_ptr 1
		.amdhsa_user_sgpr_dispatch_id 0
		.amdhsa_user_sgpr_flat_scratch_init 0
		.amdhsa_user_sgpr_kernarg_preload_length 0
		.amdhsa_user_sgpr_kernarg_preload_offset 0
		.amdhsa_user_sgpr_private_segment_size 0
		.amdhsa_uses_dynamic_stack 0
		.amdhsa_system_sgpr_private_segment_wavefront_offset 0
		.amdhsa_system_sgpr_workgroup_id_x 1
		.amdhsa_system_sgpr_workgroup_id_y 1
		.amdhsa_system_sgpr_workgroup_id_z 0
		.amdhsa_system_sgpr_workgroup_info 0
		.amdhsa_system_vgpr_workitem_id 0
		.amdhsa_next_free_vgpr 4
		.amdhsa_next_free_sgpr 8
		.amdhsa_accum_offset 4
		.amdhsa_reserve_vcc 1
		.amdhsa_reserve_flat_scratch 0
		.amdhsa_float_round_mode_32 0
		.amdhsa_float_round_mode_16_64 0
		.amdhsa_float_denorm_mode_32 3
		.amdhsa_float_denorm_mode_16_64 3
		.amdhsa_dx10_clamp 1
		.amdhsa_ieee_mode 1
		.amdhsa_fp16_overflow 0
		.amdhsa_tg_split 0
		.amdhsa_exception_fp_ieee_invalid_op 0
		.amdhsa_exception_fp_denorm_src 0
		.amdhsa_exception_fp_ieee_div_zero 0
		.amdhsa_exception_fp_ieee_overflow 0
		.amdhsa_exception_fp_ieee_underflow 0
		.amdhsa_exception_fp_ieee_inexact 0
		.amdhsa_exception_int_div_zero 0
	.end_amdhsa_kernel
	.section	.text._ZN9rocsolver6v33100L7set_tauIdEEviPT_l,"axG",@progbits,_ZN9rocsolver6v33100L7set_tauIdEEviPT_l,comdat
.Lfunc_end25:
	.size	_ZN9rocsolver6v33100L7set_tauIdEEviPT_l, .Lfunc_end25-_ZN9rocsolver6v33100L7set_tauIdEEviPT_l
                                        ; -- End function
	.section	.AMDGPU.csdata,"",@progbits
; Kernel info:
; codeLenInByte = 144
; NumSgprs: 12
; NumVgprs: 4
; NumAgprs: 0
; TotalNumVgprs: 4
; ScratchSize: 0
; MemoryBound: 0
; FloatMode: 240
; IeeeMode: 1
; LDSByteSize: 0 bytes/workgroup (compile time only)
; SGPRBlocks: 1
; VGPRBlocks: 0
; NumSGPRsForWavesPerEU: 12
; NumVGPRsForWavesPerEU: 4
; AccumOffset: 4
; Occupancy: 8
; WaveLimiterHint : 0
; COMPUTE_PGM_RSRC2:SCRATCH_EN: 0
; COMPUTE_PGM_RSRC2:USER_SGPR: 6
; COMPUTE_PGM_RSRC2:TRAP_HANDLER: 0
; COMPUTE_PGM_RSRC2:TGID_X_EN: 1
; COMPUTE_PGM_RSRC2:TGID_Y_EN: 1
; COMPUTE_PGM_RSRC2:TGID_Z_EN: 0
; COMPUTE_PGM_RSRC2:TIDIG_COMP_CNT: 0
; COMPUTE_PGM_RSRC3_GFX90A:ACCUM_OFFSET: 0
; COMPUTE_PGM_RSRC3_GFX90A:TG_SPLIT: 0
	.section	.text._ZN9rocsolver6v33100L20larft_kernel_forwardIdPdEEv15rocblas_storev_iiT0_iilPT_lS6_il,"axG",@progbits,_ZN9rocsolver6v33100L20larft_kernel_forwardIdPdEEv15rocblas_storev_iiT0_iilPT_lS6_il,comdat
	.globl	_ZN9rocsolver6v33100L20larft_kernel_forwardIdPdEEv15rocblas_storev_iiT0_iilPT_lS6_il ; -- Begin function _ZN9rocsolver6v33100L20larft_kernel_forwardIdPdEEv15rocblas_storev_iiT0_iilPT_lS6_il
	.p2align	8
	.type	_ZN9rocsolver6v33100L20larft_kernel_forwardIdPdEEv15rocblas_storev_iiT0_iilPT_lS6_il,@function
_ZN9rocsolver6v33100L20larft_kernel_forwardIdPdEEv15rocblas_storev_iiT0_iilPT_lS6_il: ; @_ZN9rocsolver6v33100L20larft_kernel_forwardIdPdEEv15rocblas_storev_iiT0_iilPT_lS6_il
; %bb.0:
	s_load_dword s2, s[4:5], 0x5c
	s_load_dword s30, s[4:5], 0x40
	s_load_dwordx2 s[0:1], s[4:5], 0x48
	s_load_dwordx4 s[16:19], s[4:5], 0x0
	s_load_dwordx8 s[8:15], s[4:5], 0x20
	s_waitcnt lgkmcnt(0)
	s_and_b32 s19, s2, 0xffff
	s_ashr_i32 s6, s7, 31
	s_mul_i32 s1, s7, s1
	s_mul_hi_u32 s2, s7, s0
	s_add_i32 s1, s2, s1
	s_mul_i32 s2, s6, s0
	s_add_i32 s1, s1, s2
	s_mul_i32 s0, s7, s0
	s_lshl_b64 s[0:1], s[0:1], 3
	s_add_u32 s31, s14, s0
	s_addc_u32 s33, s15, s1
	v_cmp_gt_i32_e64 s[0:1], s18, v0
	v_lshlrev_b32_e32 v1, 3, v0
	s_and_saveexec_b64 s[2:3], s[0:1]
	s_cbranch_execz .LBB26_5
; %bb.1:
	v_add_u32_e32 v2, 8, v1
	v_mul_lo_u32 v2, s18, v2
	s_lshl_b32 s22, s18, 3
	v_add3_u32 v6, v2, v1, 0
	s_add_i32 s23, s22, 8
	s_add_i32 s24, s30, 1
	v_mad_u64_u32 v[2:3], s[14:15], v0, s30, v[0:1]
	s_mul_i32 s23, s23, s19
	s_mul_i32 s24, s24, s19
	s_mov_b64 s[14:15], 0
	v_mov_b32_e32 v3, s33
	v_mov_b32_e32 v7, v0
.LBB26_2:                               ; =>This Loop Header: Depth=1
                                        ;     Child Loop BB26_3 Depth 2
	s_mov_b64 s[20:21], 0
	v_mov_b32_e32 v4, v2
	v_mov_b32_e32 v8, v6
	v_mov_b32_e32 v9, v7
.LBB26_3:                               ;   Parent Loop BB26_2 Depth=1
                                        ; =>  This Inner Loop Header: Depth=2
	v_ashrrev_i32_e32 v5, 31, v4
	v_lshlrev_b64 v[10:11], 3, v[4:5]
	v_add_co_u32_e32 v10, vcc, s31, v10
	v_addc_co_u32_e32 v11, vcc, v3, v11, vcc
	global_load_dwordx2 v[10:11], v[10:11], off
	v_add_u32_e32 v9, 1, v9
	v_cmp_le_i32_e32 vcc, s18, v9
	v_add_u32_e32 v4, s30, v4
	s_or_b64 s[20:21], vcc, s[20:21]
	s_waitcnt vmcnt(0)
	ds_write_b64 v8, v[10:11]
	v_add_u32_e32 v8, s22, v8
	s_andn2_b64 exec, exec, s[20:21]
	s_cbranch_execnz .LBB26_3
; %bb.4:                                ;   in Loop: Header=BB26_2 Depth=1
	s_or_b64 exec, exec, s[20:21]
	v_add_u32_e32 v7, s19, v7
	v_cmp_le_i32_e32 vcc, s18, v7
	v_add_u32_e32 v6, s23, v6
	s_or_b64 s[14:15], vcc, s[14:15]
	v_add_u32_e32 v2, s24, v2
	s_andn2_b64 exec, exec, s[14:15]
	s_cbranch_execnz .LBB26_2
.LBB26_5:
	s_or_b64 exec, exec, s[2:3]
	s_cmp_lt_i32 s18, 2
	s_waitcnt lgkmcnt(0)
	s_barrier
	s_cbranch_scc1 .LBB26_31
; %bb.6:
	s_load_dwordx4 s[20:23], s[4:5], 0x10
	s_mul_i32 s2, s7, s13
	s_mul_hi_u32 s3, s7, s12
	s_add_i32 s4, s3, s2
	s_mul_i32 s5, s6, s12
	s_add_i32 s5, s4, s5
	s_mul_i32 s4, s7, s12
	s_waitcnt lgkmcnt(0)
	s_ashr_i32 s3, s22, 31
	s_lshl_b64 s[4:5], s[4:5], 3
	s_mov_b32 s2, s22
	s_add_u32 s22, s10, s4
	s_addc_u32 s34, s11, s5
	s_lshl_b32 s35, s18, 3
	s_add_i32 s36, s35, 0
	s_cmpk_lg_i32 s16, 0xb5
	s_mul_i32 s4, s8, s6
	s_mul_hi_u32 s6, s8, s7
	s_cselect_b64 s[10:11], -1, 0
	s_add_i32 s4, s6, s4
	s_mul_i32 s6, s9, s7
	s_add_i32 s9, s4, s6
	s_mul_i32 s8, s8, s7
	s_lshl_b64 s[12:13], s[8:9], 3
	s_add_u32 s16, s12, 8
	s_addc_u32 s37, s13, 0
	s_lshl_b64 s[2:3], s[2:3], 3
	s_add_u32 s38, s20, s2
	s_addc_u32 s39, s21, s3
	s_ashr_i32 s9, s23, 31
	s_mov_b32 s8, s23
	s_lshl_b32 s6, s23, 1
	s_lshl_b64 s[8:9], s[8:9], 3
	s_lshl_b32 s40, s19, 3
	s_add_u32 s2, s12, s2
	s_addc_u32 s3, s13, s3
	s_add_u32 s2, s2, s20
	s_addc_u32 s3, s3, s21
	s_add_u32 s42, s2, 16
	v_add_u32_e32 v4, 8, v1
	s_mov_b32 s5, 0
	v_mov_b32_e32 v3, s13
	v_add_co_u32_e32 v2, vcc, s12, v1
	s_addc_u32 s43, s3, 0
	v_mul_lo_u32 v4, s18, v4
	s_add_i32 s45, s35, 8
	s_mov_b32 s4, 1
	v_addc_co_u32_e32 v3, vcc, 0, v3, vcc
	s_mov_b32 s41, s5
	v_mul_lo_u32 v10, v0, s23
	s_mul_i32 s44, s23, s19
	v_add3_u32 v11, v4, v1, 0
	s_mul_i32 s45, s45, s19
	v_add_u32_e32 v12, 0, v1
	s_mov_b32 s12, s23
	s_branch .LBB26_8
.LBB26_7:                               ;   in Loop: Header=BB26_8 Depth=1
	s_or_b64 exec, exec, s[2:3]
	s_add_i32 s4, s4, 1
	s_add_u32 s16, s16, 8
	s_addc_u32 s37, s37, 0
	s_add_i32 s6, s6, s23
	s_add_u32 s42, s42, 8
	s_addc_u32 s43, s43, 0
	s_add_i32 s12, s12, s23
	s_cmp_eq_u32 s4, s18
	s_waitcnt lgkmcnt(0)
	s_barrier
	s_cbranch_scc1 .LBB26_31
.LBB26_8:                               ; =>This Loop Header: Depth=1
                                        ;     Child Loop BB26_13 Depth 2
                                        ;       Child Loop BB26_15 Depth 3
                                        ;     Child Loop BB26_22 Depth 2
                                        ;       Child Loop BB26_24 Depth 3
	;; [unrolled: 2-line block ×3, first 2 shown]
	s_mul_i32 s2, s4, s18
	s_not_b32 s47, s4
	s_lshl_b32 s2, s2, 3
	s_add_i32 s47, s47, s17
	s_add_i32 s46, s36, s2
	s_mov_b64 s[14:15], -1
	s_and_b64 vcc, exec, s[10:11]
	v_cmp_gt_u32_e64 s[2:3], s4, v0
	s_cbranch_vccz .LBB26_17
; %bb.9:                                ;   in Loop: Header=BB26_8 Depth=1
	s_and_saveexec_b64 s[14:15], s[2:3]
	s_cbranch_execz .LBB26_16
; %bb.10:                               ;   in Loop: Header=BB26_8 Depth=1
	s_ashr_i32 s7, s6, 31
	s_lshl_b64 s[2:3], s[6:7], 3
	s_add_u32 s2, s38, s2
	s_addc_u32 s3, s39, s3
	s_cmp_gt_i32 s47, 0
	s_cselect_b64 s[20:21], -1, 0
	s_lshl_b64 s[24:25], s[4:5], 3
	s_add_u32 s24, s22, s24
	s_addc_u32 s25, s34, s25
	s_load_dwordx2 s[24:25], s[24:25], 0x0
	s_mov_b64 s[26:27], 0
	v_pk_mov_b32 v[4:5], v[2:3], v[2:3] op_sel:[0,1]
	v_mov_b32_e32 v8, v0
	s_branch .LBB26_13
.LBB26_11:                              ;   in Loop: Header=BB26_13 Depth=2
	v_pk_mov_b32 v[6:7], 0, 0
.LBB26_12:                              ;   in Loop: Header=BB26_13 Depth=2
	v_lshlrev_b32_e32 v9, 3, v8
	v_add_u32_e32 v13, s46, v9
	ds_read_b64 v[14:15], v13
	v_add_u32_e32 v8, s19, v8
	v_cmp_le_u32_e32 vcc, s4, v8
	v_mov_b32_e32 v13, s41
	s_or_b64 s[26:27], vcc, s[26:27]
	v_add_co_u32_e32 v4, vcc, s40, v4
	v_add_u32_e32 v9, 0, v9
	s_waitcnt lgkmcnt(0)
	v_fmac_f64_e32 v[14:15], s[24:25], v[6:7]
	v_addc_co_u32_e32 v5, vcc, v5, v13, vcc
	ds_write_b64 v9, v[14:15]
	s_andn2_b64 exec, exec, s[26:27]
	s_cbranch_execz .LBB26_16
.LBB26_13:                              ;   Parent Loop BB26_8 Depth=1
                                        ; =>  This Loop Header: Depth=2
                                        ;       Child Loop BB26_15 Depth 3
	s_andn2_b64 vcc, exec, s[20:21]
	s_cbranch_vccnz .LBB26_11
; %bb.14:                               ;   in Loop: Header=BB26_13 Depth=2
	s_mov_b32 s7, 0
	v_pk_mov_b32 v[6:7], 0, 0
	s_mov_b64 s[28:29], s[2:3]
.LBB26_15:                              ;   Parent Loop BB26_8 Depth=1
                                        ;     Parent Loop BB26_13 Depth=2
                                        ; =>    This Inner Loop Header: Depth=3
	v_mov_b32_e32 v9, s29
	v_add_co_u32_e32 v14, vcc, s28, v4
	v_addc_co_u32_e32 v15, vcc, v9, v5, vcc
	global_load_dwordx2 v[14:15], v[14:15], off
	s_add_u32 s48, s28, s16
	s_addc_u32 s49, s29, s37
	s_load_dwordx2 s[48:49], s[48:49], 0x0
	s_add_i32 s7, s7, 1
	s_add_u32 s28, s28, s8
	s_addc_u32 s29, s29, s9
	s_cmp_ge_i32 s7, s47
	s_waitcnt vmcnt(0) lgkmcnt(0)
	v_fmac_f64_e32 v[6:7], s[48:49], v[14:15]
	s_cbranch_scc0 .LBB26_15
	s_branch .LBB26_12
.LBB26_16:                              ;   in Loop: Header=BB26_8 Depth=1
	s_or_b64 exec, exec, s[14:15]
	s_mov_b64 s[14:15], 0
.LBB26_17:                              ;   in Loop: Header=BB26_8 Depth=1
	s_andn2_b64 vcc, exec, s[14:15]
	s_cbranch_vccnz .LBB26_26
; %bb.18:                               ;   in Loop: Header=BB26_8 Depth=1
	v_cmp_gt_u32_e32 vcc, s4, v0
	s_and_saveexec_b64 s[2:3], vcc
	s_cbranch_execz .LBB26_25
; %bb.19:                               ;   in Loop: Header=BB26_8 Depth=1
	s_ashr_i32 s13, s12, 31
	s_lshl_b64 s[14:15], s[12:13], 3
	s_add_u32 s14, s42, s14
	s_addc_u32 s15, s43, s15
	s_cmp_gt_i32 s47, 0
	s_cselect_b64 s[20:21], -1, 0
	s_lshl_b64 s[24:25], s[4:5], 3
	s_add_u32 s24, s22, s24
	s_addc_u32 s25, s34, s25
	s_load_dwordx2 s[24:25], s[24:25], 0x0
	s_mov_b64 s[26:27], 0
	v_mov_b32_e32 v4, v10
	v_mov_b32_e32 v13, v0
	s_branch .LBB26_22
.LBB26_20:                              ;   in Loop: Header=BB26_22 Depth=2
	v_pk_mov_b32 v[6:7], 0, 0
.LBB26_21:                              ;   in Loop: Header=BB26_22 Depth=2
	v_lshlrev_b32_e32 v5, 3, v13
	v_add_u32_e32 v8, s46, v5
	ds_read_b64 v[8:9], v8
	v_add_u32_e32 v13, s19, v13
	v_cmp_le_u32_e32 vcc, s4, v13
	v_add_u32_e32 v5, 0, v5
	s_or_b64 s[26:27], vcc, s[26:27]
	s_waitcnt lgkmcnt(0)
	v_fmac_f64_e32 v[8:9], s[24:25], v[6:7]
	v_add_u32_e32 v4, s44, v4
	ds_write_b64 v5, v[8:9]
	s_andn2_b64 exec, exec, s[26:27]
	s_cbranch_execz .LBB26_25
.LBB26_22:                              ;   Parent Loop BB26_8 Depth=1
                                        ; =>  This Loop Header: Depth=2
                                        ;       Child Loop BB26_24 Depth 3
	s_andn2_b64 vcc, exec, s[20:21]
	s_cbranch_vccnz .LBB26_20
; %bb.23:                               ;   in Loop: Header=BB26_22 Depth=2
	v_ashrrev_i32_e32 v5, 31, v4
	v_lshlrev_b64 v[6:7], 3, v[4:5]
	v_mov_b32_e32 v5, s43
	v_add_co_u32_e32 v8, vcc, s42, v6
	v_addc_co_u32_e32 v9, vcc, v5, v7, vcc
	s_mov_b32 s7, 0
	v_pk_mov_b32 v[6:7], 0, 0
	s_mov_b64 s[28:29], s[14:15]
.LBB26_24:                              ;   Parent Loop BB26_8 Depth=1
                                        ;     Parent Loop BB26_22 Depth=2
                                        ; =>    This Inner Loop Header: Depth=3
	global_load_dwordx2 v[14:15], v[8:9], off
	s_load_dwordx2 s[48:49], s[28:29], 0x0
	s_add_i32 s7, s7, 1
	s_add_u32 s28, s28, 8
	v_add_co_u32_e32 v8, vcc, 8, v8
	s_addc_u32 s29, s29, 0
	v_addc_co_u32_e32 v9, vcc, 0, v9, vcc
	s_cmp_ge_i32 s7, s47
	s_waitcnt vmcnt(0) lgkmcnt(0)
	v_fmac_f64_e32 v[6:7], s[48:49], v[14:15]
	s_cbranch_scc0 .LBB26_24
	s_branch .LBB26_21
.LBB26_25:                              ;   in Loop: Header=BB26_8 Depth=1
	s_or_b64 exec, exec, s[2:3]
.LBB26_26:                              ;   in Loop: Header=BB26_8 Depth=1
	v_cmp_gt_u32_e32 vcc, s4, v0
	s_waitcnt lgkmcnt(0)
	s_barrier
	s_and_saveexec_b64 s[2:3], vcc
	s_cbranch_execz .LBB26_7
; %bb.27:                               ;   in Loop: Header=BB26_8 Depth=1
	s_mov_b64 s[14:15], 0
	v_mov_b32_e32 v6, v12
	v_mov_b32_e32 v7, v11
	;; [unrolled: 1-line block ×3, first 2 shown]
.LBB26_28:                              ;   Parent Loop BB26_8 Depth=1
                                        ; =>  This Loop Header: Depth=2
                                        ;       Child Loop BB26_29 Depth 3
	v_pk_mov_b32 v[4:5], 0, 0
	s_mov_b64 s[20:21], 0
	v_mov_b32_e32 v9, v6
	v_mov_b32_e32 v13, v7
	;; [unrolled: 1-line block ×3, first 2 shown]
.LBB26_29:                              ;   Parent Loop BB26_8 Depth=1
                                        ;     Parent Loop BB26_28 Depth=2
                                        ; =>    This Inner Loop Header: Depth=3
	ds_read_b64 v[16:17], v13
	ds_read_b64 v[18:19], v9
	v_add_u32_e32 v14, 1, v14
	v_cmp_le_u32_e32 vcc, s4, v14
	v_add_u32_e32 v13, s35, v13
	v_add_u32_e32 v9, 8, v9
	s_or_b64 s[20:21], vcc, s[20:21]
	s_waitcnt lgkmcnt(0)
	v_fmac_f64_e32 v[4:5], v[16:17], v[18:19]
	s_andn2_b64 exec, exec, s[20:21]
	s_cbranch_execnz .LBB26_29
; %bb.30:                               ;   in Loop: Header=BB26_28 Depth=2
	s_or_b64 exec, exec, s[20:21]
	v_lshl_add_u32 v9, v8, 3, s46
	v_add_u32_e32 v8, s19, v8
	v_cmp_le_u32_e32 vcc, s4, v8
	v_add_u32_e32 v7, s45, v7
	s_or_b64 s[14:15], vcc, s[14:15]
	v_add_u32_e32 v6, s40, v6
	ds_write_b64 v9, v[4:5]
	s_andn2_b64 exec, exec, s[14:15]
	s_cbranch_execnz .LBB26_28
	s_branch .LBB26_7
.LBB26_31:
	s_and_saveexec_b64 s[2:3], s[0:1]
	s_cbranch_execz .LBB26_36
; %bb.32:
	v_mad_u64_u32 v[2:3], s[0:1], v0, s30, v[0:1]
	v_add_u32_e32 v3, 8, v1
	s_lshl_b32 s7, s18, 3
	s_add_i32 s6, s30, 1
	v_mul_lo_u32 v3, s18, v3
	s_add_i32 s8, s7, 8
	s_mul_i32 s6, s6, s19
	v_add3_u32 v1, v3, v1, 0
	s_mul_i32 s8, s8, s19
	s_mov_b64 s[2:3], 0
	v_mov_b32_e32 v3, s33
.LBB26_33:                              ; =>This Loop Header: Depth=1
                                        ;     Child Loop BB26_34 Depth 2
	s_mov_b64 s[4:5], 0
	v_mov_b32_e32 v6, v1
	v_mov_b32_e32 v4, v2
	;; [unrolled: 1-line block ×3, first 2 shown]
.LBB26_34:                              ;   Parent Loop BB26_33 Depth=1
                                        ; =>  This Inner Loop Header: Depth=2
	ds_read_b64 v[8:9], v6
	v_ashrrev_i32_e32 v5, 31, v4
	v_add_u32_e32 v7, 1, v7
	v_lshlrev_b64 v[10:11], 3, v[4:5]
	v_cmp_le_i32_e32 vcc, s18, v7
	v_add_co_u32_e64 v10, s[0:1], s31, v10
	v_add_u32_e32 v6, s7, v6
	v_add_u32_e32 v4, s30, v4
	v_addc_co_u32_e64 v11, s[0:1], v3, v11, s[0:1]
	s_or_b64 s[4:5], vcc, s[4:5]
	s_waitcnt lgkmcnt(0)
	global_store_dwordx2 v[10:11], v[8:9], off
	s_andn2_b64 exec, exec, s[4:5]
	s_cbranch_execnz .LBB26_34
; %bb.35:                               ;   in Loop: Header=BB26_33 Depth=1
	s_or_b64 exec, exec, s[4:5]
	v_add_u32_e32 v0, s19, v0
	v_cmp_le_i32_e32 vcc, s18, v0
	v_add_u32_e32 v2, s6, v2
	s_or_b64 s[2:3], vcc, s[2:3]
	v_add_u32_e32 v1, s8, v1
	s_andn2_b64 exec, exec, s[2:3]
	s_cbranch_execnz .LBB26_33
.LBB26_36:
	s_endpgm
	.section	.rodata,"a",@progbits
	.p2align	6, 0x0
	.amdhsa_kernel _ZN9rocsolver6v33100L20larft_kernel_forwardIdPdEEv15rocblas_storev_iiT0_iilPT_lS6_il
		.amdhsa_group_segment_fixed_size 0
		.amdhsa_private_segment_fixed_size 0
		.amdhsa_kernarg_size 336
		.amdhsa_user_sgpr_count 6
		.amdhsa_user_sgpr_private_segment_buffer 1
		.amdhsa_user_sgpr_dispatch_ptr 0
		.amdhsa_user_sgpr_queue_ptr 0
		.amdhsa_user_sgpr_kernarg_segment_ptr 1
		.amdhsa_user_sgpr_dispatch_id 0
		.amdhsa_user_sgpr_flat_scratch_init 0
		.amdhsa_user_sgpr_kernarg_preload_length 0
		.amdhsa_user_sgpr_kernarg_preload_offset 0
		.amdhsa_user_sgpr_private_segment_size 0
		.amdhsa_uses_dynamic_stack 0
		.amdhsa_system_sgpr_private_segment_wavefront_offset 0
		.amdhsa_system_sgpr_workgroup_id_x 1
		.amdhsa_system_sgpr_workgroup_id_y 1
		.amdhsa_system_sgpr_workgroup_id_z 0
		.amdhsa_system_sgpr_workgroup_info 0
		.amdhsa_system_vgpr_workitem_id 0
		.amdhsa_next_free_vgpr 20
		.amdhsa_next_free_sgpr 50
		.amdhsa_accum_offset 20
		.amdhsa_reserve_vcc 1
		.amdhsa_reserve_flat_scratch 0
		.amdhsa_float_round_mode_32 0
		.amdhsa_float_round_mode_16_64 0
		.amdhsa_float_denorm_mode_32 3
		.amdhsa_float_denorm_mode_16_64 3
		.amdhsa_dx10_clamp 1
		.amdhsa_ieee_mode 1
		.amdhsa_fp16_overflow 0
		.amdhsa_tg_split 0
		.amdhsa_exception_fp_ieee_invalid_op 0
		.amdhsa_exception_fp_denorm_src 0
		.amdhsa_exception_fp_ieee_div_zero 0
		.amdhsa_exception_fp_ieee_overflow 0
		.amdhsa_exception_fp_ieee_underflow 0
		.amdhsa_exception_fp_ieee_inexact 0
		.amdhsa_exception_int_div_zero 0
	.end_amdhsa_kernel
	.section	.text._ZN9rocsolver6v33100L20larft_kernel_forwardIdPdEEv15rocblas_storev_iiT0_iilPT_lS6_il,"axG",@progbits,_ZN9rocsolver6v33100L20larft_kernel_forwardIdPdEEv15rocblas_storev_iiT0_iilPT_lS6_il,comdat
.Lfunc_end26:
	.size	_ZN9rocsolver6v33100L20larft_kernel_forwardIdPdEEv15rocblas_storev_iiT0_iilPT_lS6_il, .Lfunc_end26-_ZN9rocsolver6v33100L20larft_kernel_forwardIdPdEEv15rocblas_storev_iiT0_iilPT_lS6_il
                                        ; -- End function
	.section	.AMDGPU.csdata,"",@progbits
; Kernel info:
; codeLenInByte = 1496
; NumSgprs: 54
; NumVgprs: 20
; NumAgprs: 0
; TotalNumVgprs: 20
; ScratchSize: 0
; MemoryBound: 0
; FloatMode: 240
; IeeeMode: 1
; LDSByteSize: 0 bytes/workgroup (compile time only)
; SGPRBlocks: 6
; VGPRBlocks: 2
; NumSGPRsForWavesPerEU: 54
; NumVGPRsForWavesPerEU: 20
; AccumOffset: 20
; Occupancy: 8
; WaveLimiterHint : 0
; COMPUTE_PGM_RSRC2:SCRATCH_EN: 0
; COMPUTE_PGM_RSRC2:USER_SGPR: 6
; COMPUTE_PGM_RSRC2:TRAP_HANDLER: 0
; COMPUTE_PGM_RSRC2:TGID_X_EN: 1
; COMPUTE_PGM_RSRC2:TGID_Y_EN: 1
; COMPUTE_PGM_RSRC2:TGID_Z_EN: 0
; COMPUTE_PGM_RSRC2:TIDIG_COMP_CNT: 0
; COMPUTE_PGM_RSRC3_GFX90A:ACCUM_OFFSET: 4
; COMPUTE_PGM_RSRC3_GFX90A:TG_SPLIT: 0
	.section	.text._ZN9rocsolver6v33100L13conj_in_placeIdiPdTnNSt9enable_ifIXnt18rocblas_is_complexIT_EEiE4typeELi0EEEvT0_S7_T1_lS7_l,"axG",@progbits,_ZN9rocsolver6v33100L13conj_in_placeIdiPdTnNSt9enable_ifIXnt18rocblas_is_complexIT_EEiE4typeELi0EEEvT0_S7_T1_lS7_l,comdat
	.globl	_ZN9rocsolver6v33100L13conj_in_placeIdiPdTnNSt9enable_ifIXnt18rocblas_is_complexIT_EEiE4typeELi0EEEvT0_S7_T1_lS7_l ; -- Begin function _ZN9rocsolver6v33100L13conj_in_placeIdiPdTnNSt9enable_ifIXnt18rocblas_is_complexIT_EEiE4typeELi0EEEvT0_S7_T1_lS7_l
	.p2align	8
	.type	_ZN9rocsolver6v33100L13conj_in_placeIdiPdTnNSt9enable_ifIXnt18rocblas_is_complexIT_EEiE4typeELi0EEEvT0_S7_T1_lS7_l,@function
_ZN9rocsolver6v33100L13conj_in_placeIdiPdTnNSt9enable_ifIXnt18rocblas_is_complexIT_EEiE4typeELi0EEEvT0_S7_T1_lS7_l: ; @_ZN9rocsolver6v33100L13conj_in_placeIdiPdTnNSt9enable_ifIXnt18rocblas_is_complexIT_EEiE4typeELi0EEEvT0_S7_T1_lS7_l
; %bb.0:
	s_endpgm
	.section	.rodata,"a",@progbits
	.p2align	6, 0x0
	.amdhsa_kernel _ZN9rocsolver6v33100L13conj_in_placeIdiPdTnNSt9enable_ifIXnt18rocblas_is_complexIT_EEiE4typeELi0EEEvT0_S7_T1_lS7_l
		.amdhsa_group_segment_fixed_size 0
		.amdhsa_private_segment_fixed_size 0
		.amdhsa_kernarg_size 40
		.amdhsa_user_sgpr_count 6
		.amdhsa_user_sgpr_private_segment_buffer 1
		.amdhsa_user_sgpr_dispatch_ptr 0
		.amdhsa_user_sgpr_queue_ptr 0
		.amdhsa_user_sgpr_kernarg_segment_ptr 1
		.amdhsa_user_sgpr_dispatch_id 0
		.amdhsa_user_sgpr_flat_scratch_init 0
		.amdhsa_user_sgpr_kernarg_preload_length 0
		.amdhsa_user_sgpr_kernarg_preload_offset 0
		.amdhsa_user_sgpr_private_segment_size 0
		.amdhsa_uses_dynamic_stack 0
		.amdhsa_system_sgpr_private_segment_wavefront_offset 0
		.amdhsa_system_sgpr_workgroup_id_x 1
		.amdhsa_system_sgpr_workgroup_id_y 0
		.amdhsa_system_sgpr_workgroup_id_z 0
		.amdhsa_system_sgpr_workgroup_info 0
		.amdhsa_system_vgpr_workitem_id 0
		.amdhsa_next_free_vgpr 1
		.amdhsa_next_free_sgpr 0
		.amdhsa_accum_offset 4
		.amdhsa_reserve_vcc 0
		.amdhsa_reserve_flat_scratch 0
		.amdhsa_float_round_mode_32 0
		.amdhsa_float_round_mode_16_64 0
		.amdhsa_float_denorm_mode_32 3
		.amdhsa_float_denorm_mode_16_64 3
		.amdhsa_dx10_clamp 1
		.amdhsa_ieee_mode 1
		.amdhsa_fp16_overflow 0
		.amdhsa_tg_split 0
		.amdhsa_exception_fp_ieee_invalid_op 0
		.amdhsa_exception_fp_denorm_src 0
		.amdhsa_exception_fp_ieee_div_zero 0
		.amdhsa_exception_fp_ieee_overflow 0
		.amdhsa_exception_fp_ieee_underflow 0
		.amdhsa_exception_fp_ieee_inexact 0
		.amdhsa_exception_int_div_zero 0
	.end_amdhsa_kernel
	.section	.text._ZN9rocsolver6v33100L13conj_in_placeIdiPdTnNSt9enable_ifIXnt18rocblas_is_complexIT_EEiE4typeELi0EEEvT0_S7_T1_lS7_l,"axG",@progbits,_ZN9rocsolver6v33100L13conj_in_placeIdiPdTnNSt9enable_ifIXnt18rocblas_is_complexIT_EEiE4typeELi0EEEvT0_S7_T1_lS7_l,comdat
.Lfunc_end27:
	.size	_ZN9rocsolver6v33100L13conj_in_placeIdiPdTnNSt9enable_ifIXnt18rocblas_is_complexIT_EEiE4typeELi0EEEvT0_S7_T1_lS7_l, .Lfunc_end27-_ZN9rocsolver6v33100L13conj_in_placeIdiPdTnNSt9enable_ifIXnt18rocblas_is_complexIT_EEiE4typeELi0EEEvT0_S7_T1_lS7_l
                                        ; -- End function
	.section	.AMDGPU.csdata,"",@progbits
; Kernel info:
; codeLenInByte = 4
; NumSgprs: 4
; NumVgprs: 0
; NumAgprs: 0
; TotalNumVgprs: 0
; ScratchSize: 0
; MemoryBound: 0
; FloatMode: 240
; IeeeMode: 1
; LDSByteSize: 0 bytes/workgroup (compile time only)
; SGPRBlocks: 0
; VGPRBlocks: 0
; NumSGPRsForWavesPerEU: 4
; NumVGPRsForWavesPerEU: 1
; AccumOffset: 4
; Occupancy: 8
; WaveLimiterHint : 0
; COMPUTE_PGM_RSRC2:SCRATCH_EN: 0
; COMPUTE_PGM_RSRC2:USER_SGPR: 6
; COMPUTE_PGM_RSRC2:TRAP_HANDLER: 0
; COMPUTE_PGM_RSRC2:TGID_X_EN: 1
; COMPUTE_PGM_RSRC2:TGID_Y_EN: 0
; COMPUTE_PGM_RSRC2:TGID_Z_EN: 0
; COMPUTE_PGM_RSRC2:TIDIG_COMP_CNT: 0
; COMPUTE_PGM_RSRC3_GFX90A:ACCUM_OFFSET: 0
; COMPUTE_PGM_RSRC3_GFX90A:TG_SPLIT: 0
	.section	.text._ZN9rocsolver6v33100L21larft_kernel_backwardIdPdEEv15rocblas_storev_iiT0_iilPT_lS6_il,"axG",@progbits,_ZN9rocsolver6v33100L21larft_kernel_backwardIdPdEEv15rocblas_storev_iiT0_iilPT_lS6_il,comdat
	.globl	_ZN9rocsolver6v33100L21larft_kernel_backwardIdPdEEv15rocblas_storev_iiT0_iilPT_lS6_il ; -- Begin function _ZN9rocsolver6v33100L21larft_kernel_backwardIdPdEEv15rocblas_storev_iiT0_iilPT_lS6_il
	.p2align	8
	.type	_ZN9rocsolver6v33100L21larft_kernel_backwardIdPdEEv15rocblas_storev_iiT0_iilPT_lS6_il,@function
_ZN9rocsolver6v33100L21larft_kernel_backwardIdPdEEv15rocblas_storev_iiT0_iilPT_lS6_il: ; @_ZN9rocsolver6v33100L21larft_kernel_backwardIdPdEEv15rocblas_storev_iiT0_iilPT_lS6_il
; %bb.0:
	s_load_dword s2, s[4:5], 0x5c
	s_load_dword s28, s[4:5], 0x40
	s_load_dwordx2 s[0:1], s[4:5], 0x48
	s_load_dwordx4 s[16:19], s[4:5], 0x0
	s_load_dwordx8 s[8:15], s[4:5], 0x20
	s_waitcnt lgkmcnt(0)
	s_and_b32 s19, s2, 0xffff
	s_ashr_i32 s6, s7, 31
	s_mul_i32 s1, s7, s1
	s_mul_hi_u32 s2, s7, s0
	s_add_i32 s1, s2, s1
	s_mul_i32 s2, s6, s0
	s_add_i32 s1, s1, s2
	s_mul_i32 s0, s7, s0
	s_lshl_b64 s[0:1], s[0:1], 3
	s_add_u32 s29, s14, s0
	s_addc_u32 s30, s15, s1
	v_cmp_gt_i32_e64 s[0:1], s18, v0
	v_add_u32_e32 v1, 1, v0
	s_and_saveexec_b64 s[2:3], s[0:1]
	s_cbranch_execz .LBB28_5
; %bb.1:
	s_lshl_b32 s22, s18, 3
	s_add_i32 s14, s22, 0
	v_add_u32_e32 v4, 1, v0
	v_lshl_add_u32 v5, v0, 3, s14
	s_lshl_b32 s23, s19, 3
	s_mov_b64 s[14:15], 0
	v_mov_b32_e32 v6, s30
	v_mov_b32_e32 v7, v0
.LBB28_2:                               ; =>This Loop Header: Depth=1
                                        ;     Child Loop BB28_3 Depth 2
	s_mov_b64 s[20:21], 0
	v_mov_b32_e32 v2, v7
	v_mov_b32_e32 v8, v5
	s_mov_b32 s24, 0
.LBB28_3:                               ;   Parent Loop BB28_2 Depth=1
                                        ; =>  This Inner Loop Header: Depth=2
	v_ashrrev_i32_e32 v3, 31, v2
	v_lshlrev_b64 v[10:11], 3, v[2:3]
	v_add_co_u32_e32 v10, vcc, s29, v10
	v_addc_co_u32_e32 v11, vcc, v6, v11, vcc
	global_load_dwordx2 v[10:11], v[10:11], off
	s_add_i32 s24, s24, 1
	v_cmp_eq_u32_e32 vcc, s24, v4
	v_add_u32_e32 v2, s28, v2
	s_or_b64 s[20:21], vcc, s[20:21]
	s_waitcnt vmcnt(0)
	ds_write_b64 v8, v[10:11]
	v_add_u32_e32 v8, s22, v8
	s_andn2_b64 exec, exec, s[20:21]
	s_cbranch_execnz .LBB28_3
; %bb.4:                                ;   in Loop: Header=BB28_2 Depth=1
	s_or_b64 exec, exec, s[20:21]
	v_add_u32_e32 v7, s19, v7
	v_cmp_le_i32_e32 vcc, s18, v7
	v_add_u32_e32 v4, s19, v4
	s_or_b64 s[14:15], vcc, s[14:15]
	v_add_u32_e32 v5, s23, v5
	s_andn2_b64 exec, exec, s[14:15]
	s_cbranch_execnz .LBB28_2
.LBB28_5:
	s_or_b64 exec, exec, s[2:3]
	s_cmp_lt_i32 s18, 2
	s_waitcnt lgkmcnt(0)
	s_barrier
	s_cbranch_scc1 .LBB28_31
; %bb.6:
	s_load_dwordx4 s[20:23], s[4:5], 0x10
	s_mul_i32 s2, s7, s13
	s_mul_hi_u32 s3, s7, s12
	s_add_i32 s4, s3, s2
	s_mul_i32 s5, s6, s12
	s_add_i32 s5, s4, s5
	s_mul_i32 s4, s7, s12
	s_waitcnt lgkmcnt(0)
	s_ashr_i32 s3, s22, 31
	s_lshl_b64 s[4:5], s[4:5], 3
	s_mov_b32 s2, s22
	s_add_u32 s22, s10, s4
	s_addc_u32 s31, s11, s5
	s_lshl_b32 s33, s18, 3
	s_add_i32 s34, s33, 0
	s_add_i32 s4, s18, -2
	s_sub_i32 s35, s17, s18
	s_cmpk_lg_i32 s16, 0xb5
	s_mul_i32 s6, s8, s6
	s_mul_hi_u32 s12, s8, s7
	s_cselect_b64 s[10:11], -1, 0
	s_add_i32 s6, s12, s6
	s_mul_i32 s9, s9, s7
	s_add_i32 s9, s6, s9
	s_mul_i32 s8, s8, s7
	s_lshl_b64 s[6:7], s[8:9], 3
	s_lshl_b64 s[2:3], s[2:3], 3
	s_mov_b32 s5, 0
	s_add_u32 s8, s6, s2
	s_addc_u32 s9, s7, s3
	s_lshl_b64 s[2:3], s[4:5], 3
	s_add_u32 s6, s8, s2
	s_addc_u32 s7, s9, s3
	s_add_u32 s36, s20, s6
	s_addc_u32 s37, s21, s7
	s_ashr_i32 s7, s23, 31
	s_mov_b32 s6, s23
	s_lshl_b64 s[6:7], s[6:7], 3
	s_add_u32 s38, s20, s8
	s_addc_u32 s39, s21, s9
	v_lshlrev_b32_e32 v4, 3, v0
	s_add_u32 s2, s38, s2
	s_addc_u32 s3, s39, s3
	v_add_co_u32_e32 v3, vcc, s2, v4
	s_add_i32 s2, s18, -1
	v_mov_b32_e32 v2, s3
	s_mul_i32 s8, s23, s2
	s_add_i32 s2, s33, 8
	v_addc_co_u32_e32 v5, vcc, 0, v2, vcc
	s_mul_i32 s2, s18, s2
	v_add_co_u32_e32 v2, vcc, 8, v3
	s_add_i32 s2, s2, 0
	v_addc_co_u32_e32 v3, vcc, 0, v5, vcc
	s_lshl_b32 s40, s19, 3
	s_mov_b32 s41, s5
	v_mul_lo_u32 v10, v0, s23
	s_mul_i32 s42, s23, s19
	s_mul_i32 s12, s23, s4
	v_add3_u32 v11, s2, v4, -8
	s_xor_b32 s43, s33, -8
	s_branch .LBB28_8
.LBB28_7:                               ;   in Loop: Header=BB28_8 Depth=1
	s_or_b64 exec, exec, s[2:3]
	s_add_i32 s2, s4, -1
	s_add_u32 s36, s36, -8
	s_addc_u32 s37, s37, -1
	v_add_co_u32_e32 v2, vcc, -8, v2
	s_sub_i32 s8, s8, s23
	s_sub_i32 s12, s12, s23
	v_addc_co_u32_e32 v3, vcc, -1, v3, vcc
	v_add_u32_e32 v11, s43, v11
	s_cmp_lt_i32 s4, 1
	s_mov_b32 s4, s2
	s_waitcnt lgkmcnt(0)
	s_barrier
	s_cbranch_scc1 .LBB28_31
.LBB28_8:                               ; =>This Loop Header: Depth=1
                                        ;     Child Loop BB28_13 Depth 2
                                        ;       Child Loop BB28_15 Depth 3
                                        ;     Child Loop BB28_22 Depth 2
                                        ;       Child Loop BB28_24 Depth 3
	;; [unrolled: 2-line block ×3, first 2 shown]
	s_lshl_b32 s2, s4, 3
	s_not_b32 s44, s4
	s_add_i32 s45, s34, s2
	s_mul_i32 s2, s4, s18
	s_add_i32 s44, s44, s18
	s_lshl_b32 s2, s2, 3
	s_add_i32 s46, s4, s35
	s_add_i32 s45, s45, s2
	s_mov_b64 s[14:15], -1
	s_and_b64 vcc, exec, s[10:11]
	v_cmp_gt_i32_e64 s[2:3], s44, v0
	s_cbranch_vccz .LBB28_17
; %bb.9:                                ;   in Loop: Header=BB28_8 Depth=1
	s_and_saveexec_b64 s[14:15], s[2:3]
	s_cbranch_execz .LBB28_16
; %bb.10:                               ;   in Loop: Header=BB28_8 Depth=1
	s_cmp_gt_i32 s46, 0
	s_cselect_b64 s[2:3], -1, 0
	s_lshl_b64 s[16:17], s[4:5], 3
	s_add_u32 s16, s22, s16
	s_addc_u32 s17, s31, s17
	s_load_dwordx2 s[16:17], s[16:17], 0x0
	s_add_i32 s9, s45, 8
	s_mov_b64 s[20:21], 0
	v_pk_mov_b32 v[4:5], v[2:3], v[2:3] op_sel:[0,1]
	v_mov_b32_e32 v8, v0
	s_branch .LBB28_13
.LBB28_11:                              ;   in Loop: Header=BB28_13 Depth=2
	v_pk_mov_b32 v[6:7], 0, 0
.LBB28_12:                              ;   in Loop: Header=BB28_13 Depth=2
	v_lshlrev_b32_e32 v9, 3, v8
	v_add_u32_e32 v12, s9, v9
	ds_read_b64 v[12:13], v12
	v_add_u32_e32 v8, s19, v8
	v_cmp_le_i32_e32 vcc, s44, v8
	v_mov_b32_e32 v14, s41
	s_or_b64 s[20:21], vcc, s[20:21]
	v_add_co_u32_e32 v4, vcc, s40, v4
	v_add_u32_e32 v9, 0, v9
	s_waitcnt lgkmcnt(0)
	v_fmac_f64_e32 v[12:13], s[16:17], v[6:7]
	v_addc_co_u32_e32 v5, vcc, v5, v14, vcc
	ds_write_b64 v9, v[12:13]
	s_andn2_b64 exec, exec, s[20:21]
	s_cbranch_execz .LBB28_16
.LBB28_13:                              ;   Parent Loop BB28_8 Depth=1
                                        ; =>  This Loop Header: Depth=2
                                        ;       Child Loop BB28_15 Depth 3
	s_andn2_b64 vcc, exec, s[2:3]
	s_cbranch_vccnz .LBB28_11
; %bb.14:                               ;   in Loop: Header=BB28_13 Depth=2
	s_mov_b32 s13, 0
	s_mov_b64 s[24:25], 0
	v_pk_mov_b32 v[6:7], 0, 0
.LBB28_15:                              ;   Parent Loop BB28_8 Depth=1
                                        ;     Parent Loop BB28_13 Depth=2
                                        ; =>    This Inner Loop Header: Depth=3
	v_mov_b32_e32 v9, s25
	v_add_co_u32_e32 v12, vcc, s24, v4
	v_addc_co_u32_e32 v13, vcc, v5, v9, vcc
	global_load_dwordx2 v[12:13], v[12:13], off
	s_add_u32 s26, s36, s24
	s_addc_u32 s27, s37, s25
	s_load_dwordx2 s[26:27], s[26:27], 0x0
	s_add_i32 s13, s13, 1
	s_add_u32 s24, s24, s6
	s_addc_u32 s25, s25, s7
	s_cmp_ge_i32 s13, s46
	s_waitcnt vmcnt(0) lgkmcnt(0)
	v_fmac_f64_e32 v[6:7], s[26:27], v[12:13]
	s_cbranch_scc0 .LBB28_15
	s_branch .LBB28_12
.LBB28_16:                              ;   in Loop: Header=BB28_8 Depth=1
	s_or_b64 exec, exec, s[14:15]
	s_mov_b64 s[14:15], 0
.LBB28_17:                              ;   in Loop: Header=BB28_8 Depth=1
	s_andn2_b64 vcc, exec, s[14:15]
	s_cbranch_vccnz .LBB28_26
; %bb.18:                               ;   in Loop: Header=BB28_8 Depth=1
	v_cmp_gt_i32_e32 vcc, s44, v0
	s_and_saveexec_b64 s[2:3], vcc
	s_cbranch_execz .LBB28_25
; %bb.19:                               ;   in Loop: Header=BB28_8 Depth=1
	s_ashr_i32 s9, s8, 31
	s_ashr_i32 s13, s12, 31
	s_lshl_b64 s[24:25], s[8:9], 3
	s_lshl_b64 s[14:15], s[12:13], 3
	s_add_u32 s14, s38, s14
	s_addc_u32 s15, s39, s15
	s_cmp_gt_i32 s46, 0
	s_cselect_b64 s[16:17], -1, 0
	s_lshl_b64 s[20:21], s[4:5], 3
	s_add_u32 s20, s22, s20
	s_addc_u32 s21, s31, s21
	s_load_dwordx2 s[20:21], s[20:21], 0x0
	s_add_i32 s9, s45, 8
	s_add_u32 s13, s38, s24
	s_addc_u32 s47, s39, s25
	s_mov_b64 s[24:25], 0
	v_mov_b32_e32 v4, v10
	v_mov_b32_e32 v12, v0
	s_branch .LBB28_22
.LBB28_20:                              ;   in Loop: Header=BB28_22 Depth=2
	v_pk_mov_b32 v[6:7], 0, 0
.LBB28_21:                              ;   in Loop: Header=BB28_22 Depth=2
	v_lshlrev_b32_e32 v5, 3, v12
	v_add_u32_e32 v8, s9, v5
	ds_read_b64 v[8:9], v8
	v_add_u32_e32 v12, s19, v12
	v_cmp_le_i32_e32 vcc, s44, v12
	v_add_u32_e32 v5, 0, v5
	s_or_b64 s[24:25], vcc, s[24:25]
	s_waitcnt lgkmcnt(0)
	v_fmac_f64_e32 v[8:9], s[20:21], v[6:7]
	v_add_u32_e32 v4, s42, v4
	ds_write_b64 v5, v[8:9]
	s_andn2_b64 exec, exec, s[24:25]
	s_cbranch_execz .LBB28_25
.LBB28_22:                              ;   Parent Loop BB28_8 Depth=1
                                        ; =>  This Loop Header: Depth=2
                                        ;       Child Loop BB28_24 Depth 3
	s_andn2_b64 vcc, exec, s[16:17]
	s_cbranch_vccnz .LBB28_20
; %bb.23:                               ;   in Loop: Header=BB28_22 Depth=2
	v_ashrrev_i32_e32 v5, 31, v4
	v_lshlrev_b64 v[6:7], 3, v[4:5]
	v_mov_b32_e32 v5, s47
	v_add_co_u32_e32 v8, vcc, s13, v6
	v_addc_co_u32_e32 v9, vcc, v5, v7, vcc
	s_mov_b32 s48, 0
	v_pk_mov_b32 v[6:7], 0, 0
	s_mov_b64 s[26:27], s[14:15]
.LBB28_24:                              ;   Parent Loop BB28_8 Depth=1
                                        ;     Parent Loop BB28_22 Depth=2
                                        ; =>    This Inner Loop Header: Depth=3
	global_load_dwordx2 v[14:15], v[8:9], off
	s_load_dwordx2 s[50:51], s[26:27], 0x0
	s_add_i32 s48, s48, 1
	s_add_u32 s26, s26, 8
	v_add_co_u32_e32 v8, vcc, 8, v8
	s_addc_u32 s27, s27, 0
	v_addc_co_u32_e32 v9, vcc, 0, v9, vcc
	s_cmp_ge_i32 s48, s46
	s_waitcnt vmcnt(0) lgkmcnt(0)
	v_fmac_f64_e32 v[6:7], s[50:51], v[14:15]
	s_cbranch_scc0 .LBB28_24
	s_branch .LBB28_21
.LBB28_25:                              ;   in Loop: Header=BB28_8 Depth=1
	s_or_b64 exec, exec, s[2:3]
.LBB28_26:                              ;   in Loop: Header=BB28_8 Depth=1
	v_cmp_gt_i32_e32 vcc, s44, v0
	s_waitcnt lgkmcnt(0)
	s_barrier
	s_and_saveexec_b64 s[2:3], vcc
	s_cbranch_execz .LBB28_7
; %bb.27:                               ;   in Loop: Header=BB28_8 Depth=1
	s_add_i32 s45, s45, 8
	s_mov_b64 s[14:15], 0
	v_mov_b32_e32 v6, v11
	v_mov_b32_e32 v7, v0
.LBB28_28:                              ;   Parent Loop BB28_8 Depth=1
                                        ; =>  This Loop Header: Depth=2
                                        ;       Child Loop BB28_29 Depth 3
	s_mov_b32 s9, -1
	s_mov_b32 s13, 0
	v_pk_mov_b32 v[4:5], 0, 0
	s_mov_b64 s[16:17], 0
	v_mov_b32_e32 v8, v6
.LBB28_29:                              ;   Parent Loop BB28_8 Depth=1
                                        ;     Parent Loop BB28_28 Depth=2
                                        ; =>    This Inner Loop Header: Depth=3
	v_mov_b32_e32 v9, s13
	ds_read_b64 v[12:13], v8
	ds_read_b64 v[14:15], v9
	s_add_i32 s9, s9, 1
	s_add_i32 s13, s13, 8
	v_cmp_eq_u32_e32 vcc, s9, v7
	v_add_u32_e32 v8, s33, v8
	s_or_b64 s[16:17], vcc, s[16:17]
	s_waitcnt lgkmcnt(0)
	v_fmac_f64_e32 v[4:5], v[12:13], v[14:15]
	s_andn2_b64 exec, exec, s[16:17]
	s_cbranch_execnz .LBB28_29
; %bb.30:                               ;   in Loop: Header=BB28_28 Depth=2
	s_or_b64 exec, exec, s[16:17]
	v_lshl_add_u32 v8, v7, 3, s45
	v_add_u32_e32 v7, s19, v7
	v_cmp_le_i32_e32 vcc, s44, v7
	s_or_b64 s[14:15], vcc, s[14:15]
	v_add_u32_e32 v6, s40, v6
	ds_write_b64 v8, v[4:5]
	s_andn2_b64 exec, exec, s[14:15]
	s_cbranch_execnz .LBB28_28
	s_branch .LBB28_7
.LBB28_31:
	s_and_saveexec_b64 s[2:3], s[0:1]
	s_cbranch_execz .LBB28_36
; %bb.32:
	s_lshl_b32 s6, s18, 3
	s_add_i32 s0, s6, 0
	v_lshl_add_u32 v4, v0, 3, s0
	s_lshl_b32 s7, s19, 3
	s_mov_b64 s[2:3], 0
	v_mov_b32_e32 v5, s30
.LBB28_33:                              ; =>This Loop Header: Depth=1
                                        ;     Child Loop BB28_34 Depth 2
	s_mov_b64 s[4:5], 0
	v_mov_b32_e32 v6, v4
	v_mov_b32_e32 v2, v0
	s_mov_b32 s8, 0
.LBB28_34:                              ;   Parent Loop BB28_33 Depth=1
                                        ; =>  This Inner Loop Header: Depth=2
	ds_read_b64 v[8:9], v6
	v_ashrrev_i32_e32 v3, 31, v2
	s_add_i32 s8, s8, 1
	v_lshlrev_b64 v[10:11], 3, v[2:3]
	v_cmp_eq_u32_e32 vcc, s8, v1
	v_add_co_u32_e64 v10, s[0:1], s29, v10
	v_add_u32_e32 v6, s6, v6
	v_add_u32_e32 v2, s28, v2
	v_addc_co_u32_e64 v11, s[0:1], v5, v11, s[0:1]
	s_or_b64 s[4:5], vcc, s[4:5]
	s_waitcnt lgkmcnt(0)
	global_store_dwordx2 v[10:11], v[8:9], off
	s_andn2_b64 exec, exec, s[4:5]
	s_cbranch_execnz .LBB28_34
; %bb.35:                               ;   in Loop: Header=BB28_33 Depth=1
	s_or_b64 exec, exec, s[4:5]
	v_add_u32_e32 v0, s19, v0
	v_cmp_le_i32_e32 vcc, s18, v0
	v_add_u32_e32 v1, s19, v1
	s_or_b64 s[2:3], vcc, s[2:3]
	v_add_u32_e32 v4, s7, v4
	s_andn2_b64 exec, exec, s[2:3]
	s_cbranch_execnz .LBB28_33
.LBB28_36:
	s_endpgm
	.section	.rodata,"a",@progbits
	.p2align	6, 0x0
	.amdhsa_kernel _ZN9rocsolver6v33100L21larft_kernel_backwardIdPdEEv15rocblas_storev_iiT0_iilPT_lS6_il
		.amdhsa_group_segment_fixed_size 0
		.amdhsa_private_segment_fixed_size 0
		.amdhsa_kernarg_size 336
		.amdhsa_user_sgpr_count 6
		.amdhsa_user_sgpr_private_segment_buffer 1
		.amdhsa_user_sgpr_dispatch_ptr 0
		.amdhsa_user_sgpr_queue_ptr 0
		.amdhsa_user_sgpr_kernarg_segment_ptr 1
		.amdhsa_user_sgpr_dispatch_id 0
		.amdhsa_user_sgpr_flat_scratch_init 0
		.amdhsa_user_sgpr_kernarg_preload_length 0
		.amdhsa_user_sgpr_kernarg_preload_offset 0
		.amdhsa_user_sgpr_private_segment_size 0
		.amdhsa_uses_dynamic_stack 0
		.amdhsa_system_sgpr_private_segment_wavefront_offset 0
		.amdhsa_system_sgpr_workgroup_id_x 1
		.amdhsa_system_sgpr_workgroup_id_y 1
		.amdhsa_system_sgpr_workgroup_id_z 0
		.amdhsa_system_sgpr_workgroup_info 0
		.amdhsa_system_vgpr_workitem_id 0
		.amdhsa_next_free_vgpr 16
		.amdhsa_next_free_sgpr 52
		.amdhsa_accum_offset 16
		.amdhsa_reserve_vcc 1
		.amdhsa_reserve_flat_scratch 0
		.amdhsa_float_round_mode_32 0
		.amdhsa_float_round_mode_16_64 0
		.amdhsa_float_denorm_mode_32 3
		.amdhsa_float_denorm_mode_16_64 3
		.amdhsa_dx10_clamp 1
		.amdhsa_ieee_mode 1
		.amdhsa_fp16_overflow 0
		.amdhsa_tg_split 0
		.amdhsa_exception_fp_ieee_invalid_op 0
		.amdhsa_exception_fp_denorm_src 0
		.amdhsa_exception_fp_ieee_div_zero 0
		.amdhsa_exception_fp_ieee_overflow 0
		.amdhsa_exception_fp_ieee_underflow 0
		.amdhsa_exception_fp_ieee_inexact 0
		.amdhsa_exception_int_div_zero 0
	.end_amdhsa_kernel
	.section	.text._ZN9rocsolver6v33100L21larft_kernel_backwardIdPdEEv15rocblas_storev_iiT0_iilPT_lS6_il,"axG",@progbits,_ZN9rocsolver6v33100L21larft_kernel_backwardIdPdEEv15rocblas_storev_iiT0_iilPT_lS6_il,comdat
.Lfunc_end28:
	.size	_ZN9rocsolver6v33100L21larft_kernel_backwardIdPdEEv15rocblas_storev_iiT0_iilPT_lS6_il, .Lfunc_end28-_ZN9rocsolver6v33100L21larft_kernel_backwardIdPdEEv15rocblas_storev_iiT0_iilPT_lS6_il
                                        ; -- End function
	.section	.AMDGPU.csdata,"",@progbits
; Kernel info:
; codeLenInByte = 1488
; NumSgprs: 56
; NumVgprs: 16
; NumAgprs: 0
; TotalNumVgprs: 16
; ScratchSize: 0
; MemoryBound: 0
; FloatMode: 240
; IeeeMode: 1
; LDSByteSize: 0 bytes/workgroup (compile time only)
; SGPRBlocks: 6
; VGPRBlocks: 1
; NumSGPRsForWavesPerEU: 56
; NumVGPRsForWavesPerEU: 16
; AccumOffset: 16
; Occupancy: 8
; WaveLimiterHint : 0
; COMPUTE_PGM_RSRC2:SCRATCH_EN: 0
; COMPUTE_PGM_RSRC2:USER_SGPR: 6
; COMPUTE_PGM_RSRC2:TRAP_HANDLER: 0
; COMPUTE_PGM_RSRC2:TGID_X_EN: 1
; COMPUTE_PGM_RSRC2:TGID_Y_EN: 1
; COMPUTE_PGM_RSRC2:TGID_Z_EN: 0
; COMPUTE_PGM_RSRC2:TIDIG_COMP_CNT: 0
; COMPUTE_PGM_RSRC3_GFX90A:ACCUM_OFFSET: 3
; COMPUTE_PGM_RSRC3_GFX90A:TG_SPLIT: 0
	.section	.text._ZN9rocsolver6v33100L9copymatA1IdPdEEviiT0_iilPT_,"axG",@progbits,_ZN9rocsolver6v33100L9copymatA1IdPdEEviiT0_iilPT_,comdat
	.globl	_ZN9rocsolver6v33100L9copymatA1IdPdEEviiT0_iilPT_ ; -- Begin function _ZN9rocsolver6v33100L9copymatA1IdPdEEviiT0_iilPT_
	.p2align	8
	.type	_ZN9rocsolver6v33100L9copymatA1IdPdEEviiT0_iilPT_,@function
_ZN9rocsolver6v33100L9copymatA1IdPdEEviiT0_iilPT_: ; @_ZN9rocsolver6v33100L9copymatA1IdPdEEviiT0_iilPT_
; %bb.0:
	s_load_dword s0, s[4:5], 0x34
	s_load_dwordx2 s[2:3], s[4:5], 0x0
	v_and_b32_e32 v1, 0x3ff, v0
	v_bfe_u32 v0, v0, 10, 10
	s_waitcnt lgkmcnt(0)
	s_lshr_b32 s1, s0, 16
	s_and_b32 s0, s0, 0xffff
	s_mul_i32 s6, s6, s0
	s_mul_i32 s7, s7, s1
	v_add_u32_e32 v1, s6, v1
	v_add_u32_e32 v0, s7, v0
	v_cmp_gt_u32_e32 vcc, s2, v0
	v_cmp_gt_u32_e64 s[0:1], s3, v1
	s_and_b64 s[0:1], s[0:1], vcc
	s_and_saveexec_b64 s[6:7], s[0:1]
	s_cbranch_execz .LBB29_2
; %bb.1:
	s_ashr_i32 s0, s2, 31
	s_load_dwordx8 s[12:19], s[4:5], 0x8
	s_mul_hi_u32 s4, s2, s8
	s_mul_i32 s0, s0, s8
	s_ashr_i32 s1, s3, 31
	s_add_i32 s0, s4, s0
	s_mul_i32 s4, s2, s8
	s_mul_i32 s1, s4, s1
	s_mul_hi_u32 s5, s4, s3
	s_add_i32 s1, s5, s1
	s_mul_i32 s0, s0, s3
	s_add_i32 s1, s1, s0
	s_mul_i32 s0, s4, s3
	s_lshl_b64 s[0:1], s[0:1], 3
	s_waitcnt lgkmcnt(0)
	s_add_u32 s3, s18, s0
	s_mul_i32 s4, s8, s17
	s_mul_hi_u32 s5, s8, s16
	s_addc_u32 s6, s19, s1
	s_add_i32 s5, s5, s4
	s_mul_i32 s4, s8, s16
	s_ashr_i32 s1, s14, 31
	s_lshl_b64 s[4:5], s[4:5], 3
	s_mov_b32 s0, s14
	s_add_u32 s4, s12, s4
	s_addc_u32 s5, s13, s5
	s_lshl_b64 s[0:1], s[0:1], 3
	s_add_u32 s4, s4, s0
	s_addc_u32 s5, s5, s1
	v_mad_u64_u32 v[2:3], s[0:1], v1, s15, v[0:1]
	v_mov_b32_e32 v3, 0
	v_lshlrev_b64 v[4:5], 3, v[2:3]
	v_mov_b32_e32 v2, s5
	v_add_co_u32_e32 v4, vcc, s4, v4
	v_addc_co_u32_e32 v5, vcc, v2, v5, vcc
	global_load_dwordx2 v[4:5], v[4:5], off
	v_mad_u64_u32 v[0:1], s[0:1], v1, s2, v[0:1]
	v_mov_b32_e32 v1, v3
	v_lshlrev_b64 v[0:1], 3, v[0:1]
	v_mov_b32_e32 v2, s6
	v_add_co_u32_e32 v0, vcc, s3, v0
	v_addc_co_u32_e32 v1, vcc, v2, v1, vcc
	s_waitcnt vmcnt(0)
	global_store_dwordx2 v[0:1], v[4:5], off
.LBB29_2:
	s_endpgm
	.section	.rodata,"a",@progbits
	.p2align	6, 0x0
	.amdhsa_kernel _ZN9rocsolver6v33100L9copymatA1IdPdEEviiT0_iilPT_
		.amdhsa_group_segment_fixed_size 0
		.amdhsa_private_segment_fixed_size 0
		.amdhsa_kernarg_size 296
		.amdhsa_user_sgpr_count 6
		.amdhsa_user_sgpr_private_segment_buffer 1
		.amdhsa_user_sgpr_dispatch_ptr 0
		.amdhsa_user_sgpr_queue_ptr 0
		.amdhsa_user_sgpr_kernarg_segment_ptr 1
		.amdhsa_user_sgpr_dispatch_id 0
		.amdhsa_user_sgpr_flat_scratch_init 0
		.amdhsa_user_sgpr_kernarg_preload_length 0
		.amdhsa_user_sgpr_kernarg_preload_offset 0
		.amdhsa_user_sgpr_private_segment_size 0
		.amdhsa_uses_dynamic_stack 0
		.amdhsa_system_sgpr_private_segment_wavefront_offset 0
		.amdhsa_system_sgpr_workgroup_id_x 1
		.amdhsa_system_sgpr_workgroup_id_y 1
		.amdhsa_system_sgpr_workgroup_id_z 1
		.amdhsa_system_sgpr_workgroup_info 0
		.amdhsa_system_vgpr_workitem_id 1
		.amdhsa_next_free_vgpr 6
		.amdhsa_next_free_sgpr 20
		.amdhsa_accum_offset 8
		.amdhsa_reserve_vcc 1
		.amdhsa_reserve_flat_scratch 0
		.amdhsa_float_round_mode_32 0
		.amdhsa_float_round_mode_16_64 0
		.amdhsa_float_denorm_mode_32 3
		.amdhsa_float_denorm_mode_16_64 3
		.amdhsa_dx10_clamp 1
		.amdhsa_ieee_mode 1
		.amdhsa_fp16_overflow 0
		.amdhsa_tg_split 0
		.amdhsa_exception_fp_ieee_invalid_op 0
		.amdhsa_exception_fp_denorm_src 0
		.amdhsa_exception_fp_ieee_div_zero 0
		.amdhsa_exception_fp_ieee_overflow 0
		.amdhsa_exception_fp_ieee_underflow 0
		.amdhsa_exception_fp_ieee_inexact 0
		.amdhsa_exception_int_div_zero 0
	.end_amdhsa_kernel
	.section	.text._ZN9rocsolver6v33100L9copymatA1IdPdEEviiT0_iilPT_,"axG",@progbits,_ZN9rocsolver6v33100L9copymatA1IdPdEEviiT0_iilPT_,comdat
.Lfunc_end29:
	.size	_ZN9rocsolver6v33100L9copymatA1IdPdEEviiT0_iilPT_, .Lfunc_end29-_ZN9rocsolver6v33100L9copymatA1IdPdEEviiT0_iilPT_
                                        ; -- End function
	.section	.AMDGPU.csdata,"",@progbits
; Kernel info:
; codeLenInByte = 296
; NumSgprs: 24
; NumVgprs: 6
; NumAgprs: 0
; TotalNumVgprs: 6
; ScratchSize: 0
; MemoryBound: 0
; FloatMode: 240
; IeeeMode: 1
; LDSByteSize: 0 bytes/workgroup (compile time only)
; SGPRBlocks: 2
; VGPRBlocks: 0
; NumSGPRsForWavesPerEU: 24
; NumVGPRsForWavesPerEU: 6
; AccumOffset: 8
; Occupancy: 8
; WaveLimiterHint : 0
; COMPUTE_PGM_RSRC2:SCRATCH_EN: 0
; COMPUTE_PGM_RSRC2:USER_SGPR: 6
; COMPUTE_PGM_RSRC2:TRAP_HANDLER: 0
; COMPUTE_PGM_RSRC2:TGID_X_EN: 1
; COMPUTE_PGM_RSRC2:TGID_Y_EN: 1
; COMPUTE_PGM_RSRC2:TGID_Z_EN: 1
; COMPUTE_PGM_RSRC2:TIDIG_COMP_CNT: 1
; COMPUTE_PGM_RSRC3_GFX90A:ACCUM_OFFSET: 1
; COMPUTE_PGM_RSRC3_GFX90A:TG_SPLIT: 0
	.section	.text._ZN9rocsolver6v33100L8addmatA1IdPdEEviiT0_iilPT_,"axG",@progbits,_ZN9rocsolver6v33100L8addmatA1IdPdEEviiT0_iilPT_,comdat
	.globl	_ZN9rocsolver6v33100L8addmatA1IdPdEEviiT0_iilPT_ ; -- Begin function _ZN9rocsolver6v33100L8addmatA1IdPdEEviiT0_iilPT_
	.p2align	8
	.type	_ZN9rocsolver6v33100L8addmatA1IdPdEEviiT0_iilPT_,@function
_ZN9rocsolver6v33100L8addmatA1IdPdEEviiT0_iilPT_: ; @_ZN9rocsolver6v33100L8addmatA1IdPdEEviiT0_iilPT_
; %bb.0:
	s_load_dword s0, s[4:5], 0x34
	s_load_dwordx2 s[10:11], s[4:5], 0x0
	v_and_b32_e32 v1, 0x3ff, v0
	v_bfe_u32 v0, v0, 10, 10
	s_waitcnt lgkmcnt(0)
	s_lshr_b32 s1, s0, 16
	s_and_b32 s0, s0, 0xffff
	s_mul_i32 s6, s6, s0
	s_mul_i32 s7, s7, s1
	v_add_u32_e32 v1, s6, v1
	v_add_u32_e32 v0, s7, v0
	v_cmp_gt_u32_e32 vcc, s10, v0
	v_cmp_gt_u32_e64 s[0:1], s11, v1
	s_and_b64 s[0:1], s[0:1], vcc
	s_and_saveexec_b64 s[2:3], s[0:1]
	s_cbranch_execz .LBB30_2
; %bb.1:
	s_ashr_i32 s9, s10, 31
	s_load_dwordx8 s[0:7], s[4:5], 0x8
	s_ashr_i32 s12, s11, 31
	s_mul_hi_u32 s13, s10, s8
	s_mul_i32 s9, s9, s8
	s_mul_i32 s14, s10, s8
	s_add_i32 s9, s13, s9
	s_mul_i32 s12, s14, s12
	s_mul_hi_u32 s13, s14, s11
	s_add_i32 s12, s13, s12
	s_mul_i32 s9, s9, s11
	s_add_i32 s13, s12, s9
	s_mul_i32 s12, s14, s11
	s_lshl_b64 s[12:13], s[12:13], 3
	s_waitcnt lgkmcnt(0)
	s_add_u32 s9, s6, s12
	s_addc_u32 s11, s7, s13
	s_ashr_i32 s7, s2, 31
	s_mov_b32 s6, s2
	s_mul_i32 s2, s8, s5
	s_mul_hi_u32 s5, s8, s4
	s_add_i32 s5, s5, s2
	s_mul_i32 s4, s8, s4
	s_lshl_b64 s[4:5], s[4:5], 3
	s_add_u32 s2, s0, s4
	s_addc_u32 s4, s1, s5
	s_lshl_b64 s[0:1], s[6:7], 3
	s_add_u32 s2, s2, s0
	s_addc_u32 s4, s4, s1
	v_mad_u64_u32 v[2:3], s[0:1], v1, s10, v[0:1]
	v_mov_b32_e32 v3, 0
	v_lshlrev_b64 v[4:5], 3, v[2:3]
	v_mad_u64_u32 v[0:1], s[0:1], v1, s3, v[0:1]
	v_mov_b32_e32 v2, s11
	v_add_co_u32_e32 v4, vcc, s9, v4
	v_mov_b32_e32 v1, v3
	v_addc_co_u32_e32 v5, vcc, v2, v5, vcc
	v_lshlrev_b64 v[0:1], 3, v[0:1]
	v_mov_b32_e32 v2, s4
	v_add_co_u32_e32 v0, vcc, s2, v0
	v_addc_co_u32_e32 v1, vcc, v2, v1, vcc
	global_load_dwordx2 v[4:5], v[4:5], off
	s_nop 0
	global_load_dwordx2 v[2:3], v[0:1], off
	s_waitcnt vmcnt(0)
	v_add_f64 v[2:3], v[2:3], -v[4:5]
	global_store_dwordx2 v[0:1], v[2:3], off
.LBB30_2:
	s_endpgm
	.section	.rodata,"a",@progbits
	.p2align	6, 0x0
	.amdhsa_kernel _ZN9rocsolver6v33100L8addmatA1IdPdEEviiT0_iilPT_
		.amdhsa_group_segment_fixed_size 0
		.amdhsa_private_segment_fixed_size 0
		.amdhsa_kernarg_size 296
		.amdhsa_user_sgpr_count 6
		.amdhsa_user_sgpr_private_segment_buffer 1
		.amdhsa_user_sgpr_dispatch_ptr 0
		.amdhsa_user_sgpr_queue_ptr 0
		.amdhsa_user_sgpr_kernarg_segment_ptr 1
		.amdhsa_user_sgpr_dispatch_id 0
		.amdhsa_user_sgpr_flat_scratch_init 0
		.amdhsa_user_sgpr_kernarg_preload_length 0
		.amdhsa_user_sgpr_kernarg_preload_offset 0
		.amdhsa_user_sgpr_private_segment_size 0
		.amdhsa_uses_dynamic_stack 0
		.amdhsa_system_sgpr_private_segment_wavefront_offset 0
		.amdhsa_system_sgpr_workgroup_id_x 1
		.amdhsa_system_sgpr_workgroup_id_y 1
		.amdhsa_system_sgpr_workgroup_id_z 1
		.amdhsa_system_sgpr_workgroup_info 0
		.amdhsa_system_vgpr_workitem_id 1
		.amdhsa_next_free_vgpr 6
		.amdhsa_next_free_sgpr 15
		.amdhsa_accum_offset 8
		.amdhsa_reserve_vcc 1
		.amdhsa_reserve_flat_scratch 0
		.amdhsa_float_round_mode_32 0
		.amdhsa_float_round_mode_16_64 0
		.amdhsa_float_denorm_mode_32 3
		.amdhsa_float_denorm_mode_16_64 3
		.amdhsa_dx10_clamp 1
		.amdhsa_ieee_mode 1
		.amdhsa_fp16_overflow 0
		.amdhsa_tg_split 0
		.amdhsa_exception_fp_ieee_invalid_op 0
		.amdhsa_exception_fp_denorm_src 0
		.amdhsa_exception_fp_ieee_div_zero 0
		.amdhsa_exception_fp_ieee_overflow 0
		.amdhsa_exception_fp_ieee_underflow 0
		.amdhsa_exception_fp_ieee_inexact 0
		.amdhsa_exception_int_div_zero 0
	.end_amdhsa_kernel
	.section	.text._ZN9rocsolver6v33100L8addmatA1IdPdEEviiT0_iilPT_,"axG",@progbits,_ZN9rocsolver6v33100L8addmatA1IdPdEEviiT0_iilPT_,comdat
.Lfunc_end30:
	.size	_ZN9rocsolver6v33100L8addmatA1IdPdEEviiT0_iilPT_, .Lfunc_end30-_ZN9rocsolver6v33100L8addmatA1IdPdEEviiT0_iilPT_
                                        ; -- End function
	.section	.AMDGPU.csdata,"",@progbits
; Kernel info:
; codeLenInByte = 316
; NumSgprs: 19
; NumVgprs: 6
; NumAgprs: 0
; TotalNumVgprs: 6
; ScratchSize: 0
; MemoryBound: 0
; FloatMode: 240
; IeeeMode: 1
; LDSByteSize: 0 bytes/workgroup (compile time only)
; SGPRBlocks: 2
; VGPRBlocks: 0
; NumSGPRsForWavesPerEU: 19
; NumVGPRsForWavesPerEU: 6
; AccumOffset: 8
; Occupancy: 8
; WaveLimiterHint : 0
; COMPUTE_PGM_RSRC2:SCRATCH_EN: 0
; COMPUTE_PGM_RSRC2:USER_SGPR: 6
; COMPUTE_PGM_RSRC2:TRAP_HANDLER: 0
; COMPUTE_PGM_RSRC2:TGID_X_EN: 1
; COMPUTE_PGM_RSRC2:TGID_Y_EN: 1
; COMPUTE_PGM_RSRC2:TGID_Z_EN: 1
; COMPUTE_PGM_RSRC2:TIDIG_COMP_CNT: 1
; COMPUTE_PGM_RSRC3_GFX90A:ACCUM_OFFSET: 1
; COMPUTE_PGM_RSRC3_GFX90A:TG_SPLIT: 0
	.section	.text._ZN9rocsolver6v33100L15copyshift_rightIdPdEEvbiT0_iilPT_iil,"axG",@progbits,_ZN9rocsolver6v33100L15copyshift_rightIdPdEEvbiT0_iilPT_iil,comdat
	.globl	_ZN9rocsolver6v33100L15copyshift_rightIdPdEEvbiT0_iilPT_iil ; -- Begin function _ZN9rocsolver6v33100L15copyshift_rightIdPdEEvbiT0_iilPT_iil
	.p2align	8
	.type	_ZN9rocsolver6v33100L15copyshift_rightIdPdEEvbiT0_iilPT_iil,@function
_ZN9rocsolver6v33100L15copyshift_rightIdPdEEvbiT0_iilPT_iil: ; @_ZN9rocsolver6v33100L15copyshift_rightIdPdEEvbiT0_iilPT_iil
; %bb.0:
	s_load_dwordx4 s[12:15], s[4:5], 0x0
	s_load_dwordx4 s[0:3], s[4:5], 0x18
	s_load_dword s9, s[4:5], 0x44
	s_load_dwordx2 s[16:17], s[4:5], 0x10
	v_and_b32_e32 v1, 0x3ff, v0
	s_waitcnt lgkmcnt(0)
	s_bitcmp1_b32 s12, 0
	s_cselect_b64 s[10:11], -1, 0
	s_xor_b64 s[18:19], s[10:11], -1
	s_and_b32 s10, s9, 0xffff
	s_lshr_b32 s9, s9, 16
	s_mul_i32 s7, s7, s9
	s_mul_i32 s1, s8, s1
	s_mul_hi_u32 s9, s8, s0
	v_bfe_u32 v0, v0, 10, 10
	s_add_i32 s1, s9, s1
	s_mul_i32 s0, s8, s0
	s_mul_i32 s6, s6, s10
	v_add_u32_e32 v0, s7, v0
	s_ashr_i32 s7, s16, 31
	s_lshl_b64 s[0:1], s[0:1], 3
	v_add_u32_e32 v2, s6, v1
	s_mov_b32 s6, s16
	s_add_u32 s9, s14, s0
	s_addc_u32 s11, s15, s1
	s_lshl_b64 s[0:1], s[6:7], 3
	v_or_b32_e32 v1, v2, v0
	s_add_u32 s10, s9, s0
	v_cmp_eq_u32_e32 vcc, 0, v1
	s_addc_u32 s11, s11, s1
	s_and_b64 s[6:7], vcc, s[18:19]
	s_and_saveexec_b64 s[0:1], s[6:7]
	s_cbranch_execz .LBB31_2
; %bb.1:
	v_mov_b32_e32 v4, 0
	v_mov_b32_e32 v5, 0x3ff00000
	global_store_dwordx2 v4, v[4:5], s[10:11]
.LBB31_2:
	s_or_b64 exec, exec, s[0:1]
	v_max_u32_e32 v1, v0, v2
	v_cmp_gt_u32_e32 vcc, s13, v1
	v_cmp_le_u32_e64 s[0:1], v0, v2
	s_and_b64 s[0:1], s[0:1], vcc
	s_and_saveexec_b64 s[6:7], s[0:1]
	s_cbranch_execz .LBB31_13
; %bb.3:
	s_load_dwordx4 s[4:7], s[4:5], 0x28
	s_waitcnt lgkmcnt(0)
	s_ashr_i32 s1, s4, 31
	s_mov_b32 s0, s4
	s_mul_i32 s4, s8, s7
	s_mul_hi_u32 s7, s8, s6
	s_mul_i32 s6, s8, s6
	s_add_i32 s7, s7, s4
	s_lshl_b64 s[6:7], s[6:7], 3
	s_add_u32 s2, s2, s6
	s_addc_u32 s3, s3, s7
	s_lshl_b64 s[0:1], s[0:1], 3
	s_add_u32 s2, s2, s0
	s_addc_u32 s3, s3, s1
	v_mad_u64_u32 v[4:5], s[0:1], v0, v0, v[0:1]
	v_lshrrev_b32_e32 v1, 1, v4
	s_and_b64 vcc, exec, s[18:19]
	s_cbranch_vccz .LBB31_7
; %bb.4:
	v_mad_u64_u32 v[4:5], s[0:1], v0, s5, v[2:3]
	v_sub_u32_e32 v4, v4, v1
	v_mov_b32_e32 v5, 0
	v_lshlrev_b64 v[6:7], 3, v[4:5]
	v_mov_b32_e32 v3, s3
	v_add_co_u32_e32 v6, vcc, s2, v6
	v_addc_co_u32_e32 v7, vcc, v3, v7, vcc
	global_load_dwordx2 v[6:7], v[6:7], off
	v_mul_lo_u32 v3, v0, s17
	v_add3_u32 v4, v2, v3, 1
	v_lshlrev_b64 v[4:5], 3, v[4:5]
	v_mov_b32_e32 v8, s11
	v_add_co_u32_e64 v4, s[0:1], s10, v4
	v_addc_co_u32_e64 v5, s[0:1], v8, v5, s[0:1]
	v_cmp_eq_u32_e32 vcc, v2, v0
	s_mov_b64 s[6:7], 0
	s_mov_b64 s[0:1], 0
                                        ; implicit-def: $sgpr8_sgpr9
	s_waitcnt vmcnt(0)
	global_store_dwordx2 v[4:5], v[6:7], off
                                        ; implicit-def: $vgpr4
	s_and_saveexec_b64 s[12:13], vcc
	s_xor_b64 s[12:13], exec, s[12:13]
; %bb.5:
	s_mov_b64 s[0:1], exec
	v_add_u32_e32 v4, s17, v3
	s_mov_b64 s[8:9], 0
; %bb.6:
	s_or_b64 exec, exec, s[12:13]
	s_and_b64 vcc, exec, s[6:7]
	v_pk_mov_b32 v[6:7], s[8:9], s[8:9] op_sel:[0,1]
	s_cbranch_vccnz .LBB31_8
	s_branch .LBB31_11
.LBB31_7:
	s_mov_b64 s[0:1], 0
                                        ; implicit-def: $sgpr8_sgpr9
                                        ; implicit-def: $vgpr4
	v_pk_mov_b32 v[6:7], s[8:9], s[8:9] op_sel:[0,1]
	s_cbranch_execz .LBB31_11
.LBB31_8:
	v_cmp_ne_u32_e32 vcc, 0, v0
	v_pk_mov_b32 v[6:7], 0, 0
	s_and_saveexec_b64 s[0:1], vcc
	s_cbranch_execz .LBB31_10
; %bb.9:
	v_add_u32_e32 v3, -1, v0
	v_mul_lo_u32 v3, v3, s17
	v_add3_u32 v4, v2, v3, 1
	v_mov_b32_e32 v5, 0
	v_lshlrev_b64 v[4:5], 3, v[4:5]
	v_mov_b32_e32 v3, s11
	v_add_co_u32_e32 v4, vcc, s10, v4
	v_addc_co_u32_e32 v5, vcc, v3, v5, vcc
	global_load_dwordx2 v[6:7], v[4:5], off
.LBB31_10:
	s_or_b64 exec, exec, s[0:1]
	v_mad_u64_u32 v[2:3], s[0:1], v0, s5, v[2:3]
	v_sub_u32_e32 v4, v2, v1
	s_mov_b64 s[0:1], -1
	s_mov_b64 s[10:11], s[2:3]
.LBB31_11:
	s_and_b64 exec, exec, s[0:1]
	s_cbranch_execz .LBB31_13
; %bb.12:
	v_mov_b32_e32 v5, 0
	v_lshlrev_b64 v[0:1], 3, v[4:5]
	v_mov_b32_e32 v2, s11
	v_add_co_u32_e32 v0, vcc, s10, v0
	v_addc_co_u32_e32 v1, vcc, v2, v1, vcc
	s_waitcnt vmcnt(0)
	global_store_dwordx2 v[0:1], v[6:7], off
.LBB31_13:
	s_endpgm
	.section	.rodata,"a",@progbits
	.p2align	6, 0x0
	.amdhsa_kernel _ZN9rocsolver6v33100L15copyshift_rightIdPdEEvbiT0_iilPT_iil
		.amdhsa_group_segment_fixed_size 0
		.amdhsa_private_segment_fixed_size 0
		.amdhsa_kernarg_size 312
		.amdhsa_user_sgpr_count 6
		.amdhsa_user_sgpr_private_segment_buffer 1
		.amdhsa_user_sgpr_dispatch_ptr 0
		.amdhsa_user_sgpr_queue_ptr 0
		.amdhsa_user_sgpr_kernarg_segment_ptr 1
		.amdhsa_user_sgpr_dispatch_id 0
		.amdhsa_user_sgpr_flat_scratch_init 0
		.amdhsa_user_sgpr_kernarg_preload_length 0
		.amdhsa_user_sgpr_kernarg_preload_offset 0
		.amdhsa_user_sgpr_private_segment_size 0
		.amdhsa_uses_dynamic_stack 0
		.amdhsa_system_sgpr_private_segment_wavefront_offset 0
		.amdhsa_system_sgpr_workgroup_id_x 1
		.amdhsa_system_sgpr_workgroup_id_y 1
		.amdhsa_system_sgpr_workgroup_id_z 1
		.amdhsa_system_sgpr_workgroup_info 0
		.amdhsa_system_vgpr_workitem_id 1
		.amdhsa_next_free_vgpr 9
		.amdhsa_next_free_sgpr 20
		.amdhsa_accum_offset 12
		.amdhsa_reserve_vcc 1
		.amdhsa_reserve_flat_scratch 0
		.amdhsa_float_round_mode_32 0
		.amdhsa_float_round_mode_16_64 0
		.amdhsa_float_denorm_mode_32 3
		.amdhsa_float_denorm_mode_16_64 3
		.amdhsa_dx10_clamp 1
		.amdhsa_ieee_mode 1
		.amdhsa_fp16_overflow 0
		.amdhsa_tg_split 0
		.amdhsa_exception_fp_ieee_invalid_op 0
		.amdhsa_exception_fp_denorm_src 0
		.amdhsa_exception_fp_ieee_div_zero 0
		.amdhsa_exception_fp_ieee_overflow 0
		.amdhsa_exception_fp_ieee_underflow 0
		.amdhsa_exception_fp_ieee_inexact 0
		.amdhsa_exception_int_div_zero 0
	.end_amdhsa_kernel
	.section	.text._ZN9rocsolver6v33100L15copyshift_rightIdPdEEvbiT0_iilPT_iil,"axG",@progbits,_ZN9rocsolver6v33100L15copyshift_rightIdPdEEvbiT0_iilPT_iil,comdat
.Lfunc_end31:
	.size	_ZN9rocsolver6v33100L15copyshift_rightIdPdEEvbiT0_iilPT_iil, .Lfunc_end31-_ZN9rocsolver6v33100L15copyshift_rightIdPdEEvbiT0_iilPT_iil
                                        ; -- End function
	.section	.AMDGPU.csdata,"",@progbits
; Kernel info:
; codeLenInByte = 608
; NumSgprs: 24
; NumVgprs: 9
; NumAgprs: 0
; TotalNumVgprs: 9
; ScratchSize: 0
; MemoryBound: 0
; FloatMode: 240
; IeeeMode: 1
; LDSByteSize: 0 bytes/workgroup (compile time only)
; SGPRBlocks: 2
; VGPRBlocks: 1
; NumSGPRsForWavesPerEU: 24
; NumVGPRsForWavesPerEU: 9
; AccumOffset: 12
; Occupancy: 8
; WaveLimiterHint : 0
; COMPUTE_PGM_RSRC2:SCRATCH_EN: 0
; COMPUTE_PGM_RSRC2:USER_SGPR: 6
; COMPUTE_PGM_RSRC2:TRAP_HANDLER: 0
; COMPUTE_PGM_RSRC2:TGID_X_EN: 1
; COMPUTE_PGM_RSRC2:TGID_Y_EN: 1
; COMPUTE_PGM_RSRC2:TGID_Z_EN: 1
; COMPUTE_PGM_RSRC2:TIDIG_COMP_CNT: 1
; COMPUTE_PGM_RSRC3_GFX90A:ACCUM_OFFSET: 2
; COMPUTE_PGM_RSRC3_GFX90A:TG_SPLIT: 0
	.section	.text._ZN9rocsolver6v33100L16orgl2_init_identIdPdEEviiiT0_iil,"axG",@progbits,_ZN9rocsolver6v33100L16orgl2_init_identIdPdEEviiiT0_iil,comdat
	.globl	_ZN9rocsolver6v33100L16orgl2_init_identIdPdEEviiiT0_iil ; -- Begin function _ZN9rocsolver6v33100L16orgl2_init_identIdPdEEviiiT0_iil
	.p2align	8
	.type	_ZN9rocsolver6v33100L16orgl2_init_identIdPdEEviiiT0_iil,@function
_ZN9rocsolver6v33100L16orgl2_init_identIdPdEEviiiT0_iil: ; @_ZN9rocsolver6v33100L16orgl2_init_identIdPdEEviiiT0_iil
; %bb.0:
	s_load_dword s9, s[4:5], 0x34
	s_load_dwordx4 s[0:3], s[4:5], 0x0
	v_bfe_u32 v1, v0, 10, 10
	v_and_b32_e32 v0, 0x3ff, v0
	s_waitcnt lgkmcnt(0)
	s_lshr_b32 s3, s9, 16
	s_and_b32 s9, s9, 0xffff
	s_mul_i32 s7, s7, s3
	s_mul_i32 s6, s6, s9
	v_add_u32_e32 v2, s7, v1
	v_add_u32_e32 v6, s6, v0
	v_cmp_gt_u32_e32 vcc, s0, v6
	v_cmp_gt_u32_e64 s[0:1], s1, v2
	s_and_b64 s[0:1], vcc, s[0:1]
	s_and_saveexec_b64 s[6:7], s[0:1]
	s_cbranch_execz .LBB32_5
; %bb.1:
	s_load_dwordx2 s[0:1], s[4:5], 0x18
	v_cmp_ne_u32_e32 vcc, v6, v2
	s_mov_b64 s[10:11], 0
                                        ; implicit-def: $vgpr4_vgpr5
                                        ; implicit-def: $vgpr0
	s_and_saveexec_b64 s[6:7], vcc
	s_xor_b64 s[6:7], exec, s[6:7]
	s_cbranch_execnz .LBB32_6
; %bb.2:
	s_andn2_saveexec_b64 s[2:3], s[6:7]
	s_cbranch_execnz .LBB32_13
.LBB32_3:
	s_or_b64 exec, exec, s[2:3]
	s_and_b64 exec, exec, s[10:11]
	s_cbranch_execz .LBB32_5
.LBB32_4:
	s_load_dwordx2 s[2:3], s[4:5], 0x20
	s_load_dwordx2 s[6:7], s[4:5], 0x10
	s_waitcnt lgkmcnt(0)
	s_ashr_i32 s1, s0, 31
	v_mov_b32_e32 v1, 0
	v_lshlrev_b64 v[0:1], 3, v[0:1]
	s_mul_i32 s3, s8, s3
	s_mul_hi_u32 s4, s8, s2
	s_mul_i32 s2, s8, s2
	s_add_i32 s3, s4, s3
	s_lshl_b64 s[2:3], s[2:3], 3
	s_add_u32 s2, s6, s2
	s_addc_u32 s3, s7, s3
	s_lshl_b64 s[0:1], s[0:1], 3
	s_add_u32 s0, s2, s0
	s_addc_u32 s1, s3, s1
	v_mov_b32_e32 v2, s1
	v_add_co_u32_e32 v0, vcc, s0, v0
	v_addc_co_u32_e32 v1, vcc, v2, v1, vcc
	global_store_dwordx2 v[0:1], v[4:5], off
.LBB32_5:
	s_endpgm
.LBB32_6:
	v_cmp_ge_u32_e32 vcc, v2, v6
                                        ; implicit-def: $sgpr12_sgpr13
                                        ; implicit-def: $vgpr0
	s_and_saveexec_b64 s[14:15], vcc
	s_xor_b64 s[14:15], exec, s[14:15]
	s_cbranch_execz .LBB32_10
; %bb.7:
	v_cmp_le_u32_e32 vcc, s2, v6
	s_mov_b64 s[2:3], 0
                                        ; implicit-def: $sgpr12_sgpr13
                                        ; implicit-def: $vgpr0
	s_and_saveexec_b64 s[10:11], vcc
	s_xor_b64 s[10:11], exec, s[10:11]
	s_cbranch_execz .LBB32_9
; %bb.8:
	s_waitcnt lgkmcnt(0)
	v_mad_u64_u32 v[0:1], s[12:13], v2, s1, v[6:7]
	s_mov_b64 s[2:3], exec
	s_mov_b64 s[12:13], 0
.LBB32_9:
	s_or_b64 exec, exec, s[10:11]
	s_and_b64 s[10:11], s[2:3], exec
                                        ; implicit-def: $vgpr6
                                        ; implicit-def: $vgpr2
.LBB32_10:
	s_or_saveexec_b64 s[2:3], s[14:15]
	v_pk_mov_b32 v[4:5], s[12:13], s[12:13] op_sel:[0,1]
	s_xor_b64 exec, exec, s[2:3]
	s_cbranch_execz .LBB32_12
; %bb.11:
	s_waitcnt lgkmcnt(0)
	v_mad_u64_u32 v[0:1], s[12:13], v2, s1, v[6:7]
	v_pk_mov_b32 v[4:5], 0, 0
	s_or_b64 s[10:11], s[10:11], exec
.LBB32_12:
	s_or_b64 exec, exec, s[2:3]
	s_and_b64 s[10:11], s[10:11], exec
                                        ; implicit-def: $vgpr2
	s_andn2_saveexec_b64 s[2:3], s[6:7]
	s_cbranch_execz .LBB32_3
.LBB32_13:
	v_mov_b32_e32 v4, 0
	s_waitcnt lgkmcnt(0)
	v_mad_u64_u32 v[0:1], s[6:7], v2, s1, v[2:3]
	v_mov_b32_e32 v5, 0x3ff00000
	s_or_b64 s[10:11], s[10:11], exec
	s_or_b64 exec, exec, s[2:3]
	s_and_b64 exec, exec, s[10:11]
	s_cbranch_execnz .LBB32_4
	s_branch .LBB32_5
	.section	.rodata,"a",@progbits
	.p2align	6, 0x0
	.amdhsa_kernel _ZN9rocsolver6v33100L16orgl2_init_identIdPdEEviiiT0_iil
		.amdhsa_group_segment_fixed_size 0
		.amdhsa_private_segment_fixed_size 0
		.amdhsa_kernarg_size 296
		.amdhsa_user_sgpr_count 6
		.amdhsa_user_sgpr_private_segment_buffer 1
		.amdhsa_user_sgpr_dispatch_ptr 0
		.amdhsa_user_sgpr_queue_ptr 0
		.amdhsa_user_sgpr_kernarg_segment_ptr 1
		.amdhsa_user_sgpr_dispatch_id 0
		.amdhsa_user_sgpr_flat_scratch_init 0
		.amdhsa_user_sgpr_kernarg_preload_length 0
		.amdhsa_user_sgpr_kernarg_preload_offset 0
		.amdhsa_user_sgpr_private_segment_size 0
		.amdhsa_uses_dynamic_stack 0
		.amdhsa_system_sgpr_private_segment_wavefront_offset 0
		.amdhsa_system_sgpr_workgroup_id_x 1
		.amdhsa_system_sgpr_workgroup_id_y 1
		.amdhsa_system_sgpr_workgroup_id_z 1
		.amdhsa_system_sgpr_workgroup_info 0
		.amdhsa_system_vgpr_workitem_id 1
		.amdhsa_next_free_vgpr 8
		.amdhsa_next_free_sgpr 16
		.amdhsa_accum_offset 8
		.amdhsa_reserve_vcc 1
		.amdhsa_reserve_flat_scratch 0
		.amdhsa_float_round_mode_32 0
		.amdhsa_float_round_mode_16_64 0
		.amdhsa_float_denorm_mode_32 3
		.amdhsa_float_denorm_mode_16_64 3
		.amdhsa_dx10_clamp 1
		.amdhsa_ieee_mode 1
		.amdhsa_fp16_overflow 0
		.amdhsa_tg_split 0
		.amdhsa_exception_fp_ieee_invalid_op 0
		.amdhsa_exception_fp_denorm_src 0
		.amdhsa_exception_fp_ieee_div_zero 0
		.amdhsa_exception_fp_ieee_overflow 0
		.amdhsa_exception_fp_ieee_underflow 0
		.amdhsa_exception_fp_ieee_inexact 0
		.amdhsa_exception_int_div_zero 0
	.end_amdhsa_kernel
	.section	.text._ZN9rocsolver6v33100L16orgl2_init_identIdPdEEviiiT0_iil,"axG",@progbits,_ZN9rocsolver6v33100L16orgl2_init_identIdPdEEviiiT0_iil,comdat
.Lfunc_end32:
	.size	_ZN9rocsolver6v33100L16orgl2_init_identIdPdEEviiiT0_iil, .Lfunc_end32-_ZN9rocsolver6v33100L16orgl2_init_identIdPdEEviiiT0_iil
                                        ; -- End function
	.section	.AMDGPU.csdata,"",@progbits
; Kernel info:
; codeLenInByte = 404
; NumSgprs: 20
; NumVgprs: 8
; NumAgprs: 0
; TotalNumVgprs: 8
; ScratchSize: 0
; MemoryBound: 0
; FloatMode: 240
; IeeeMode: 1
; LDSByteSize: 0 bytes/workgroup (compile time only)
; SGPRBlocks: 2
; VGPRBlocks: 0
; NumSGPRsForWavesPerEU: 20
; NumVGPRsForWavesPerEU: 8
; AccumOffset: 8
; Occupancy: 8
; WaveLimiterHint : 0
; COMPUTE_PGM_RSRC2:SCRATCH_EN: 0
; COMPUTE_PGM_RSRC2:USER_SGPR: 6
; COMPUTE_PGM_RSRC2:TRAP_HANDLER: 0
; COMPUTE_PGM_RSRC2:TGID_X_EN: 1
; COMPUTE_PGM_RSRC2:TGID_Y_EN: 1
; COMPUTE_PGM_RSRC2:TGID_Z_EN: 1
; COMPUTE_PGM_RSRC2:TIDIG_COMP_CNT: 1
; COMPUTE_PGM_RSRC3_GFX90A:ACCUM_OFFSET: 1
; COMPUTE_PGM_RSRC3_GFX90A:TG_SPLIT: 0
	.section	.text._ZN9rocsolver6v33100L14copyshift_downIdPdEEvbiT0_iilPT_iil,"axG",@progbits,_ZN9rocsolver6v33100L14copyshift_downIdPdEEvbiT0_iilPT_iil,comdat
	.globl	_ZN9rocsolver6v33100L14copyshift_downIdPdEEvbiT0_iilPT_iil ; -- Begin function _ZN9rocsolver6v33100L14copyshift_downIdPdEEvbiT0_iilPT_iil
	.p2align	8
	.type	_ZN9rocsolver6v33100L14copyshift_downIdPdEEvbiT0_iilPT_iil,@function
_ZN9rocsolver6v33100L14copyshift_downIdPdEEvbiT0_iilPT_iil: ; @_ZN9rocsolver6v33100L14copyshift_downIdPdEEvbiT0_iilPT_iil
; %bb.0:
	s_load_dwordx4 s[12:15], s[4:5], 0x0
	s_load_dwordx4 s[0:3], s[4:5], 0x18
	s_load_dword s9, s[4:5], 0x44
	s_load_dwordx2 s[10:11], s[4:5], 0x10
	v_and_b32_e32 v1, 0x3ff, v0
	s_waitcnt lgkmcnt(0)
	s_bitcmp1_b32 s12, 0
	s_cselect_b64 s[16:17], -1, 0
	s_and_b32 s12, s9, 0xffff
	s_lshr_b32 s9, s9, 16
	s_mul_i32 s7, s7, s9
	s_mul_i32 s1, s8, s1
	s_mul_hi_u32 s9, s8, s0
	v_bfe_u32 v0, v0, 10, 10
	s_add_i32 s1, s9, s1
	s_mul_i32 s0, s8, s0
	s_xor_b64 s[16:17], s[16:17], -1
	s_mul_i32 s6, s6, s12
	v_add_u32_e32 v3, s7, v0
	s_ashr_i32 s7, s10, 31
	s_lshl_b64 s[0:1], s[0:1], 3
	v_add_u32_e32 v2, s6, v1
	s_mov_b32 s6, s10
	s_add_u32 s9, s14, s0
	s_addc_u32 s10, s15, s1
	s_lshl_b64 s[0:1], s[6:7], 3
	v_or_b32_e32 v0, v2, v3
	s_add_u32 s6, s9, s0
	v_cmp_eq_u32_e32 vcc, 0, v0
	s_addc_u32 s7, s10, s1
	s_and_b64 s[14:15], vcc, s[16:17]
	s_and_saveexec_b64 s[0:1], s[14:15]
	s_cbranch_execz .LBB33_2
; %bb.1:
	v_mov_b32_e32 v0, 0
	v_mov_b32_e32 v1, 0x3ff00000
	global_store_dwordx2 v0, v[0:1], s[6:7]
.LBB33_2:
	s_or_b64 exec, exec, s[0:1]
	v_max_u32_e32 v0, v3, v2
	v_cmp_gt_u32_e32 vcc, s13, v0
	v_cmp_le_u32_e64 s[0:1], v2, v3
	s_and_b64 s[0:1], s[0:1], vcc
	s_and_saveexec_b64 s[12:13], s[0:1]
	s_cbranch_execz .LBB33_11
; %bb.3:
	s_load_dword s0, s[4:5], 0x28
	s_load_dwordx2 s[12:13], s[4:5], 0x30
	v_add_u32_e32 v0, 1, v3
	v_mul_lo_u32 v1, v0, v3
	v_lshrrev_b32_e32 v4, 1, v1
	s_waitcnt lgkmcnt(0)
	s_ashr_i32 s1, s0, 31
	s_mul_i32 s5, s8, s13
	s_mul_hi_u32 s9, s8, s12
	s_mul_i32 s4, s8, s12
	s_add_i32 s5, s9, s5
	s_lshl_b64 s[4:5], s[4:5], 3
	s_add_u32 s2, s2, s4
	s_addc_u32 s3, s3, s5
	s_lshl_b64 s[0:1], s[0:1], 3
	s_add_u32 s2, s2, s0
	s_addc_u32 s3, s3, s1
	s_and_b64 vcc, exec, s[16:17]
	v_add_u32_e32 v1, v2, v4
	s_cbranch_vccz .LBB33_5
; %bb.4:
	v_add_u32_e32 v4, v2, v4
	v_mov_b32_e32 v5, 0
	v_lshlrev_b64 v[6:7], 3, v[4:5]
	v_mov_b32_e32 v4, s3
	v_add_co_u32_e32 v6, vcc, s2, v6
	v_addc_co_u32_e32 v7, vcc, v4, v7, vcc
	global_load_dwordx2 v[6:7], v[6:7], off
	v_mad_u64_u32 v[8:9], s[0:1], v0, s11, v[2:3]
	v_mov_b32_e32 v9, v5
	v_lshlrev_b64 v[4:5], 3, v[8:9]
	v_mov_b32_e32 v10, s7
	v_add_co_u32_e64 v4, s[0:1], s6, v4
	v_cmp_eq_u32_e32 vcc, v2, v3
	v_addc_co_u32_e64 v5, s[0:1], v10, v5, s[0:1]
	s_mov_b64 s[8:9], 0
	s_and_b64 s[0:1], vcc, exec
	s_waitcnt vmcnt(0)
	global_store_dwordx2 v[4:5], v[6:7], off
	v_pk_mov_b32 v[4:5], s[8:9], s[8:9] op_sel:[0,1]
	s_cbranch_execz .LBB33_6
	s_branch .LBB33_9
.LBB33_5:
	s_mov_b64 s[0:1], 0
                                        ; implicit-def: $sgpr8_sgpr9
	v_pk_mov_b32 v[4:5], s[8:9], s[8:9] op_sel:[0,1]
.LBB33_6:
	v_cmp_ne_u32_e32 vcc, 0, v2
	v_pk_mov_b32 v[4:5], 0, 0
	s_and_saveexec_b64 s[0:1], vcc
	s_cbranch_execz .LBB33_8
; %bb.7:
	v_mul_lo_u32 v0, v0, s11
	v_add3_u32 v2, v2, v0, -1
	v_mov_b32_e32 v3, 0
	v_lshlrev_b64 v[2:3], 3, v[2:3]
	v_mov_b32_e32 v0, s7
	v_add_co_u32_e32 v2, vcc, s6, v2
	v_addc_co_u32_e32 v3, vcc, v0, v3, vcc
	global_load_dwordx2 v[4:5], v[2:3], off
.LBB33_8:
	s_or_b64 exec, exec, s[0:1]
	s_mov_b64 s[0:1], -1
	s_mov_b64 s[6:7], s[2:3]
	v_mov_b32_e32 v0, v1
.LBB33_9:
	s_and_b64 exec, exec, s[0:1]
	s_cbranch_execz .LBB33_11
; %bb.10:
	v_mov_b32_e32 v1, 0
	v_lshlrev_b64 v[0:1], 3, v[0:1]
	v_mov_b32_e32 v2, s7
	v_add_co_u32_e32 v0, vcc, s6, v0
	v_addc_co_u32_e32 v1, vcc, v2, v1, vcc
	s_waitcnt vmcnt(0)
	global_store_dwordx2 v[0:1], v[4:5], off
.LBB33_11:
	s_endpgm
	.section	.rodata,"a",@progbits
	.p2align	6, 0x0
	.amdhsa_kernel _ZN9rocsolver6v33100L14copyshift_downIdPdEEvbiT0_iilPT_iil
		.amdhsa_group_segment_fixed_size 0
		.amdhsa_private_segment_fixed_size 0
		.amdhsa_kernarg_size 312
		.amdhsa_user_sgpr_count 6
		.amdhsa_user_sgpr_private_segment_buffer 1
		.amdhsa_user_sgpr_dispatch_ptr 0
		.amdhsa_user_sgpr_queue_ptr 0
		.amdhsa_user_sgpr_kernarg_segment_ptr 1
		.amdhsa_user_sgpr_dispatch_id 0
		.amdhsa_user_sgpr_flat_scratch_init 0
		.amdhsa_user_sgpr_kernarg_preload_length 0
		.amdhsa_user_sgpr_kernarg_preload_offset 0
		.amdhsa_user_sgpr_private_segment_size 0
		.amdhsa_uses_dynamic_stack 0
		.amdhsa_system_sgpr_private_segment_wavefront_offset 0
		.amdhsa_system_sgpr_workgroup_id_x 1
		.amdhsa_system_sgpr_workgroup_id_y 1
		.amdhsa_system_sgpr_workgroup_id_z 1
		.amdhsa_system_sgpr_workgroup_info 0
		.amdhsa_system_vgpr_workitem_id 1
		.amdhsa_next_free_vgpr 11
		.amdhsa_next_free_sgpr 18
		.amdhsa_accum_offset 12
		.amdhsa_reserve_vcc 1
		.amdhsa_reserve_flat_scratch 0
		.amdhsa_float_round_mode_32 0
		.amdhsa_float_round_mode_16_64 0
		.amdhsa_float_denorm_mode_32 3
		.amdhsa_float_denorm_mode_16_64 3
		.amdhsa_dx10_clamp 1
		.amdhsa_ieee_mode 1
		.amdhsa_fp16_overflow 0
		.amdhsa_tg_split 0
		.amdhsa_exception_fp_ieee_invalid_op 0
		.amdhsa_exception_fp_denorm_src 0
		.amdhsa_exception_fp_ieee_div_zero 0
		.amdhsa_exception_fp_ieee_overflow 0
		.amdhsa_exception_fp_ieee_underflow 0
		.amdhsa_exception_fp_ieee_inexact 0
		.amdhsa_exception_int_div_zero 0
	.end_amdhsa_kernel
	.section	.text._ZN9rocsolver6v33100L14copyshift_downIdPdEEvbiT0_iilPT_iil,"axG",@progbits,_ZN9rocsolver6v33100L14copyshift_downIdPdEEvbiT0_iilPT_iil,comdat
.Lfunc_end33:
	.size	_ZN9rocsolver6v33100L14copyshift_downIdPdEEvbiT0_iilPT_iil, .Lfunc_end33-_ZN9rocsolver6v33100L14copyshift_downIdPdEEvbiT0_iilPT_iil
                                        ; -- End function
	.section	.AMDGPU.csdata,"",@progbits
; Kernel info:
; codeLenInByte = 564
; NumSgprs: 22
; NumVgprs: 11
; NumAgprs: 0
; TotalNumVgprs: 11
; ScratchSize: 0
; MemoryBound: 0
; FloatMode: 240
; IeeeMode: 1
; LDSByteSize: 0 bytes/workgroup (compile time only)
; SGPRBlocks: 2
; VGPRBlocks: 1
; NumSGPRsForWavesPerEU: 22
; NumVGPRsForWavesPerEU: 11
; AccumOffset: 12
; Occupancy: 8
; WaveLimiterHint : 0
; COMPUTE_PGM_RSRC2:SCRATCH_EN: 0
; COMPUTE_PGM_RSRC2:USER_SGPR: 6
; COMPUTE_PGM_RSRC2:TRAP_HANDLER: 0
; COMPUTE_PGM_RSRC2:TGID_X_EN: 1
; COMPUTE_PGM_RSRC2:TGID_Y_EN: 1
; COMPUTE_PGM_RSRC2:TGID_Z_EN: 1
; COMPUTE_PGM_RSRC2:TIDIG_COMP_CNT: 1
; COMPUTE_PGM_RSRC3_GFX90A:ACCUM_OFFSET: 2
; COMPUTE_PGM_RSRC3_GFX90A:TG_SPLIT: 0
	.section	.text._ZN9rocsolver6v33100L6iota_nI19rocblas_complex_numIfEEEvPT_jS4_,"axG",@progbits,_ZN9rocsolver6v33100L6iota_nI19rocblas_complex_numIfEEEvPT_jS4_,comdat
	.globl	_ZN9rocsolver6v33100L6iota_nI19rocblas_complex_numIfEEEvPT_jS4_ ; -- Begin function _ZN9rocsolver6v33100L6iota_nI19rocblas_complex_numIfEEEvPT_jS4_
	.p2align	8
	.type	_ZN9rocsolver6v33100L6iota_nI19rocblas_complex_numIfEEEvPT_jS4_,@function
_ZN9rocsolver6v33100L6iota_nI19rocblas_complex_numIfEEEvPT_jS4_: ; @_ZN9rocsolver6v33100L6iota_nI19rocblas_complex_numIfEEEvPT_jS4_
; %bb.0:
	s_load_dword s0, s[4:5], 0x8
	s_waitcnt lgkmcnt(0)
	v_cmp_gt_u32_e32 vcc, s0, v0
	s_and_saveexec_b64 s[0:1], vcc
	s_cbranch_execz .LBB34_2
; %bb.1:
	s_load_dwordx2 s[0:1], s[4:5], 0xc
	s_load_dwordx2 s[2:3], s[4:5], 0x0
	v_cvt_f32_ubyte0_e32 v2, v0
	v_mov_b32_e32 v3, 0
	v_lshlrev_b32_e32 v4, 3, v0
	s_waitcnt lgkmcnt(0)
	v_pk_add_f32 v[0:1], s[0:1], v[2:3]
	global_store_dwordx2 v4, v[0:1], s[2:3]
.LBB34_2:
	s_endpgm
	.section	.rodata,"a",@progbits
	.p2align	6, 0x0
	.amdhsa_kernel _ZN9rocsolver6v33100L6iota_nI19rocblas_complex_numIfEEEvPT_jS4_
		.amdhsa_group_segment_fixed_size 0
		.amdhsa_private_segment_fixed_size 0
		.amdhsa_kernarg_size 20
		.amdhsa_user_sgpr_count 6
		.amdhsa_user_sgpr_private_segment_buffer 1
		.amdhsa_user_sgpr_dispatch_ptr 0
		.amdhsa_user_sgpr_queue_ptr 0
		.amdhsa_user_sgpr_kernarg_segment_ptr 1
		.amdhsa_user_sgpr_dispatch_id 0
		.amdhsa_user_sgpr_flat_scratch_init 0
		.amdhsa_user_sgpr_kernarg_preload_length 0
		.amdhsa_user_sgpr_kernarg_preload_offset 0
		.amdhsa_user_sgpr_private_segment_size 0
		.amdhsa_uses_dynamic_stack 0
		.amdhsa_system_sgpr_private_segment_wavefront_offset 0
		.amdhsa_system_sgpr_workgroup_id_x 1
		.amdhsa_system_sgpr_workgroup_id_y 0
		.amdhsa_system_sgpr_workgroup_id_z 0
		.amdhsa_system_sgpr_workgroup_info 0
		.amdhsa_system_vgpr_workitem_id 0
		.amdhsa_next_free_vgpr 5
		.amdhsa_next_free_sgpr 6
		.amdhsa_accum_offset 8
		.amdhsa_reserve_vcc 1
		.amdhsa_reserve_flat_scratch 0
		.amdhsa_float_round_mode_32 0
		.amdhsa_float_round_mode_16_64 0
		.amdhsa_float_denorm_mode_32 3
		.amdhsa_float_denorm_mode_16_64 3
		.amdhsa_dx10_clamp 1
		.amdhsa_ieee_mode 1
		.amdhsa_fp16_overflow 0
		.amdhsa_tg_split 0
		.amdhsa_exception_fp_ieee_invalid_op 0
		.amdhsa_exception_fp_denorm_src 0
		.amdhsa_exception_fp_ieee_div_zero 0
		.amdhsa_exception_fp_ieee_overflow 0
		.amdhsa_exception_fp_ieee_underflow 0
		.amdhsa_exception_fp_ieee_inexact 0
		.amdhsa_exception_int_div_zero 0
	.end_amdhsa_kernel
	.section	.text._ZN9rocsolver6v33100L6iota_nI19rocblas_complex_numIfEEEvPT_jS4_,"axG",@progbits,_ZN9rocsolver6v33100L6iota_nI19rocblas_complex_numIfEEEvPT_jS4_,comdat
.Lfunc_end34:
	.size	_ZN9rocsolver6v33100L6iota_nI19rocblas_complex_numIfEEEvPT_jS4_, .Lfunc_end34-_ZN9rocsolver6v33100L6iota_nI19rocblas_complex_numIfEEEvPT_jS4_
                                        ; -- End function
	.section	.AMDGPU.csdata,"",@progbits
; Kernel info:
; codeLenInByte = 76
; NumSgprs: 10
; NumVgprs: 5
; NumAgprs: 0
; TotalNumVgprs: 5
; ScratchSize: 0
; MemoryBound: 0
; FloatMode: 240
; IeeeMode: 1
; LDSByteSize: 0 bytes/workgroup (compile time only)
; SGPRBlocks: 1
; VGPRBlocks: 0
; NumSGPRsForWavesPerEU: 10
; NumVGPRsForWavesPerEU: 5
; AccumOffset: 8
; Occupancy: 8
; WaveLimiterHint : 0
; COMPUTE_PGM_RSRC2:SCRATCH_EN: 0
; COMPUTE_PGM_RSRC2:USER_SGPR: 6
; COMPUTE_PGM_RSRC2:TRAP_HANDLER: 0
; COMPUTE_PGM_RSRC2:TGID_X_EN: 1
; COMPUTE_PGM_RSRC2:TGID_Y_EN: 0
; COMPUTE_PGM_RSRC2:TGID_Z_EN: 0
; COMPUTE_PGM_RSRC2:TIDIG_COMP_CNT: 0
; COMPUTE_PGM_RSRC3_GFX90A:ACCUM_OFFSET: 1
; COMPUTE_PGM_RSRC3_GFX90A:TG_SPLIT: 0
	.section	.text._ZN9rocsolver6v33100L16org2r_init_identI19rocblas_complex_numIfEPS3_EEviiiT0_iil,"axG",@progbits,_ZN9rocsolver6v33100L16org2r_init_identI19rocblas_complex_numIfEPS3_EEviiiT0_iil,comdat
	.globl	_ZN9rocsolver6v33100L16org2r_init_identI19rocblas_complex_numIfEPS3_EEviiiT0_iil ; -- Begin function _ZN9rocsolver6v33100L16org2r_init_identI19rocblas_complex_numIfEPS3_EEviiiT0_iil
	.p2align	8
	.type	_ZN9rocsolver6v33100L16org2r_init_identI19rocblas_complex_numIfEPS3_EEviiiT0_iil,@function
_ZN9rocsolver6v33100L16org2r_init_identI19rocblas_complex_numIfEPS3_EEviiiT0_iil: ; @_ZN9rocsolver6v33100L16org2r_init_identI19rocblas_complex_numIfEPS3_EEviiiT0_iil
; %bb.0:
	s_load_dword s0, s[4:5], 0x34
	s_load_dwordx4 s[12:15], s[4:5], 0x0
	v_bfe_u32 v1, v0, 10, 10
	v_and_b32_e32 v0, 0x3ff, v0
	s_waitcnt lgkmcnt(0)
	s_lshr_b32 s1, s0, 16
	s_and_b32 s0, s0, 0xffff
	s_mul_i32 s7, s7, s1
	s_mul_i32 s6, s6, s0
	v_add_u32_e32 v2, s7, v1
	v_add_u32_e32 v4, s6, v0
	v_cmp_gt_u32_e32 vcc, s12, v4
	v_cmp_gt_u32_e64 s[0:1], s13, v2
	s_and_b64 s[0:1], vcc, s[0:1]
	s_and_saveexec_b64 s[2:3], s[0:1]
	s_cbranch_execz .LBB35_5
; %bb.1:
	s_load_dwordx4 s[0:3], s[4:5], 0x10
	s_load_dwordx2 s[6:7], s[4:5], 0x20
	v_cmp_ne_u32_e32 vcc, v4, v2
                                        ; implicit-def: $vgpr0_vgpr1
	s_waitcnt lgkmcnt(0)
	s_ashr_i32 s5, s2, 31
	s_mov_b32 s4, s2
	s_mul_i32 s2, s8, s7
	s_mul_hi_u32 s7, s8, s6
	s_add_i32 s7, s7, s2
	s_mul_i32 s6, s8, s6
	s_lshl_b64 s[6:7], s[6:7], 3
	s_add_u32 s2, s0, s6
	s_addc_u32 s6, s1, s7
	s_lshl_b64 s[0:1], s[4:5], 3
	s_add_u32 s2, s2, s0
	s_addc_u32 s10, s6, s1
	s_mov_b64 s[4:5], 0
	s_and_saveexec_b64 s[0:1], vcc
	s_xor_b64 s[0:1], exec, s[0:1]
	s_cbranch_execnz .LBB35_6
; %bb.2:
	s_andn2_saveexec_b64 s[0:1], s[0:1]
	s_cbranch_execnz .LBB35_13
.LBB35_3:
	s_or_b64 exec, exec, s[0:1]
	s_and_b64 exec, exec, s[4:5]
	s_cbranch_execz .LBB35_5
.LBB35_4:
	v_mov_b32_e32 v2, 0
	global_store_dword v[0:1], v2, off
.LBB35_5:
	s_endpgm
.LBB35_6:
	v_cmp_le_u32_e32 vcc, v2, v4
                                        ; implicit-def: $vgpr0_vgpr1
	s_and_saveexec_b64 s[6:7], vcc
	s_xor_b64 s[6:7], exec, s[6:7]
	s_cbranch_execz .LBB35_10
; %bb.7:
	v_cmp_le_u32_e32 vcc, s14, v2
                                        ; implicit-def: $vgpr0_vgpr1
	s_and_saveexec_b64 s[8:9], vcc
	s_xor_b64 s[8:9], exec, s[8:9]
	s_cbranch_execz .LBB35_9
; %bb.8:
	v_mad_u64_u32 v[2:3], s[12:13], v2, s3, v[4:5]
	v_mov_b32_e32 v3, 0
	v_lshlrev_b64 v[0:1], 3, v[2:3]
	v_mov_b32_e32 v2, s10
	v_add_co_u32_e32 v4, vcc, s2, v0
	v_addc_co_u32_e32 v5, vcc, v2, v1, vcc
	v_add_co_u32_e32 v0, vcc, 4, v4
	s_mov_b64 s[4:5], exec
	v_addc_co_u32_e32 v1, vcc, 0, v5, vcc
	global_store_dword v[4:5], v3, off
.LBB35_9:
	s_or_b64 exec, exec, s[8:9]
	s_and_b64 s[4:5], s[4:5], exec
                                        ; implicit-def: $vgpr4
                                        ; implicit-def: $vgpr2
.LBB35_10:
	s_andn2_saveexec_b64 s[6:7], s[6:7]
	s_cbranch_execz .LBB35_12
; %bb.11:
	v_mad_u64_u32 v[0:1], s[8:9], v2, s3, v[4:5]
	v_mov_b32_e32 v1, 0
	v_lshlrev_b64 v[2:3], 3, v[0:1]
	v_mov_b32_e32 v0, s10
	v_add_co_u32_e32 v2, vcc, s2, v2
	v_addc_co_u32_e32 v3, vcc, v0, v3, vcc
	v_add_co_u32_e32 v0, vcc, 4, v2
	global_store_dword v[2:3], v1, off
	v_addc_co_u32_e32 v1, vcc, 0, v3, vcc
	s_or_b64 s[4:5], s[4:5], exec
.LBB35_12:
	s_or_b64 exec, exec, s[6:7]
	s_and_b64 s[4:5], s[4:5], exec
                                        ; implicit-def: $vgpr2
	s_andn2_saveexec_b64 s[0:1], s[0:1]
	s_cbranch_execz .LBB35_3
.LBB35_13:
	v_mad_u64_u32 v[0:1], s[6:7], v2, s3, v[2:3]
	v_mov_b32_e32 v1, 0
	v_lshlrev_b64 v[0:1], 3, v[0:1]
	v_mov_b32_e32 v2, s10
	v_add_co_u32_e32 v0, vcc, s2, v0
	v_addc_co_u32_e32 v1, vcc, v2, v1, vcc
	v_mov_b32_e32 v2, 1.0
	global_store_dword v[0:1], v2, off
	v_add_co_u32_e32 v0, vcc, 4, v0
	v_addc_co_u32_e32 v1, vcc, 0, v1, vcc
	s_or_b64 s[4:5], s[4:5], exec
	s_or_b64 exec, exec, s[0:1]
	s_and_b64 exec, exec, s[4:5]
	s_cbranch_execnz .LBB35_4
	s_branch .LBB35_5
	.section	.rodata,"a",@progbits
	.p2align	6, 0x0
	.amdhsa_kernel _ZN9rocsolver6v33100L16org2r_init_identI19rocblas_complex_numIfEPS3_EEviiiT0_iil
		.amdhsa_group_segment_fixed_size 0
		.amdhsa_private_segment_fixed_size 0
		.amdhsa_kernarg_size 296
		.amdhsa_user_sgpr_count 6
		.amdhsa_user_sgpr_private_segment_buffer 1
		.amdhsa_user_sgpr_dispatch_ptr 0
		.amdhsa_user_sgpr_queue_ptr 0
		.amdhsa_user_sgpr_kernarg_segment_ptr 1
		.amdhsa_user_sgpr_dispatch_id 0
		.amdhsa_user_sgpr_flat_scratch_init 0
		.amdhsa_user_sgpr_kernarg_preload_length 0
		.amdhsa_user_sgpr_kernarg_preload_offset 0
		.amdhsa_user_sgpr_private_segment_size 0
		.amdhsa_uses_dynamic_stack 0
		.amdhsa_system_sgpr_private_segment_wavefront_offset 0
		.amdhsa_system_sgpr_workgroup_id_x 1
		.amdhsa_system_sgpr_workgroup_id_y 1
		.amdhsa_system_sgpr_workgroup_id_z 1
		.amdhsa_system_sgpr_workgroup_info 0
		.amdhsa_system_vgpr_workitem_id 1
		.amdhsa_next_free_vgpr 6
		.amdhsa_next_free_sgpr 16
		.amdhsa_accum_offset 8
		.amdhsa_reserve_vcc 1
		.amdhsa_reserve_flat_scratch 0
		.amdhsa_float_round_mode_32 0
		.amdhsa_float_round_mode_16_64 0
		.amdhsa_float_denorm_mode_32 3
		.amdhsa_float_denorm_mode_16_64 3
		.amdhsa_dx10_clamp 1
		.amdhsa_ieee_mode 1
		.amdhsa_fp16_overflow 0
		.amdhsa_tg_split 0
		.amdhsa_exception_fp_ieee_invalid_op 0
		.amdhsa_exception_fp_denorm_src 0
		.amdhsa_exception_fp_ieee_div_zero 0
		.amdhsa_exception_fp_ieee_overflow 0
		.amdhsa_exception_fp_ieee_underflow 0
		.amdhsa_exception_fp_ieee_inexact 0
		.amdhsa_exception_int_div_zero 0
	.end_amdhsa_kernel
	.section	.text._ZN9rocsolver6v33100L16org2r_init_identI19rocblas_complex_numIfEPS3_EEviiiT0_iil,"axG",@progbits,_ZN9rocsolver6v33100L16org2r_init_identI19rocblas_complex_numIfEPS3_EEviiiT0_iil,comdat
.Lfunc_end35:
	.size	_ZN9rocsolver6v33100L16org2r_init_identI19rocblas_complex_numIfEPS3_EEviiiT0_iil, .Lfunc_end35-_ZN9rocsolver6v33100L16org2r_init_identI19rocblas_complex_numIfEPS3_EEviiiT0_iil
                                        ; -- End function
	.section	.AMDGPU.csdata,"",@progbits
; Kernel info:
; codeLenInByte = 452
; NumSgprs: 20
; NumVgprs: 6
; NumAgprs: 0
; TotalNumVgprs: 6
; ScratchSize: 0
; MemoryBound: 0
; FloatMode: 240
; IeeeMode: 1
; LDSByteSize: 0 bytes/workgroup (compile time only)
; SGPRBlocks: 2
; VGPRBlocks: 0
; NumSGPRsForWavesPerEU: 20
; NumVGPRsForWavesPerEU: 6
; AccumOffset: 8
; Occupancy: 8
; WaveLimiterHint : 0
; COMPUTE_PGM_RSRC2:SCRATCH_EN: 0
; COMPUTE_PGM_RSRC2:USER_SGPR: 6
; COMPUTE_PGM_RSRC2:TRAP_HANDLER: 0
; COMPUTE_PGM_RSRC2:TGID_X_EN: 1
; COMPUTE_PGM_RSRC2:TGID_Y_EN: 1
; COMPUTE_PGM_RSRC2:TGID_Z_EN: 1
; COMPUTE_PGM_RSRC2:TIDIG_COMP_CNT: 1
; COMPUTE_PGM_RSRC3_GFX90A:ACCUM_OFFSET: 1
; COMPUTE_PGM_RSRC3_GFX90A:TG_SPLIT: 0
	.section	.text._ZN9rocsolver6v33100L16larf_left_kernelILi1024E19rocblas_complex_numIfEiPS3_EEvT1_S5_T2_lS5_lPKT0_lS6_lS5_l,"axG",@progbits,_ZN9rocsolver6v33100L16larf_left_kernelILi1024E19rocblas_complex_numIfEiPS3_EEvT1_S5_T2_lS5_lPKT0_lS6_lS5_l,comdat
	.globl	_ZN9rocsolver6v33100L16larf_left_kernelILi1024E19rocblas_complex_numIfEiPS3_EEvT1_S5_T2_lS5_lPKT0_lS6_lS5_l ; -- Begin function _ZN9rocsolver6v33100L16larf_left_kernelILi1024E19rocblas_complex_numIfEiPS3_EEvT1_S5_T2_lS5_lPKT0_lS6_lS5_l
	.p2align	8
	.type	_ZN9rocsolver6v33100L16larf_left_kernelILi1024E19rocblas_complex_numIfEiPS3_EEvT1_S5_T2_lS5_lPKT0_lS6_lS5_l,@function
_ZN9rocsolver6v33100L16larf_left_kernelILi1024E19rocblas_complex_numIfEiPS3_EEvT1_S5_T2_lS5_lPKT0_lS6_lS5_l: ; @_ZN9rocsolver6v33100L16larf_left_kernelILi1024E19rocblas_complex_numIfEiPS3_EEvT1_S5_T2_lS5_lPKT0_lS6_lS5_l
; %bb.0:
	s_load_dwordx2 s[0:1], s[4:5], 0x50
	s_load_dwordx2 s[2:3], s[4:5], 0x40
	s_load_dword s6, s[4:5], 0x48
	s_load_dword s9, s[4:5], 0x0
	s_load_dwordx8 s[12:19], s[4:5], 0x20
	s_ashr_i32 s22, s8, 31
	s_waitcnt lgkmcnt(0)
	s_mul_i32 s1, s8, s1
	s_mul_hi_u32 s10, s8, s0
	s_add_i32 s1, s10, s1
	s_mul_i32 s10, s22, s0
	v_mov_b32_e32 v5, 0
	s_add_i32 s11, s1, s10
	s_mul_i32 s10, s8, s0
	s_mul_hi_i32 s21, s6, s7
	s_mul_i32 s20, s6, s7
	v_cmp_gt_i32_e64 s[0:1], s9, v0
	v_mov_b32_e32 v4, v5
	s_and_saveexec_b64 s[6:7], s[0:1]
	s_cbranch_execz .LBB36_6
; %bb.1:
	s_load_dword s28, s[4:5], 0x18
	s_load_dwordx4 s[24:27], s[4:5], 0x8
	s_sub_i32 s4, 1, s9
	s_mul_hi_u32 s30, s12, s8
	s_mul_i32 s13, s13, s8
	s_waitcnt lgkmcnt(0)
	s_ashr_i32 s29, s28, 31
	s_mul_i32 s23, s4, s28
	v_cmp_lt_i64_e64 s[4:5], s[28:29], 1
	s_and_b64 s[4:5], s[4:5], exec
	s_cselect_b32 s4, s23, 0
	s_mul_i32 s23, s12, s22
	s_add_i32 s23, s30, s23
	s_ashr_i32 s5, s4, 31
	s_add_i32 s13, s23, s13
	s_mul_i32 s12, s12, s8
	s_lshl_b64 s[12:13], s[12:13], 3
	s_lshl_b64 s[26:27], s[26:27], 3
	;; [unrolled: 1-line block ×3, first 2 shown]
	s_add_u32 s4, s24, s4
	s_addc_u32 s5, s25, s5
	s_add_u32 s4, s4, s26
	s_addc_u32 s5, s5, s27
	v_mad_i64_i32 v[2:3], s[30:31], s28, v0, 0
	s_add_u32 s4, s4, s12
	v_lshl_add_u32 v1, v0, 3, 0
	v_lshlrev_b64 v[2:3], 3, v[2:3]
	s_addc_u32 s5, s5, s13
	v_add_u32_e32 v1, 0x80, v1
	v_mov_b32_e32 v4, s5
	v_add_co_u32_e32 v2, vcc, s4, v2
	s_lshl_b64 s[12:13], s[28:29], 13
	v_addc_co_u32_e32 v3, vcc, v4, v3, vcc
	s_mov_b64 s[4:5], 0
	v_mov_b32_e32 v4, s13
	v_mov_b32_e32 v5, v1
	;; [unrolled: 1-line block ×3, first 2 shown]
.LBB36_2:                               ; =>This Inner Loop Header: Depth=1
	global_load_dwordx2 v[8:9], v[2:3], off
	v_add_co_u32_e32 v2, vcc, s12, v2
	v_add_u32_e32 v6, 0x400, v6
	v_addc_co_u32_e32 v3, vcc, v3, v4, vcc
	v_cmp_le_i32_e32 vcc, s9, v6
	s_or_b64 s[4:5], vcc, s[4:5]
	s_waitcnt vmcnt(0)
	ds_write_b64 v5, v[8:9]
	v_add_u32_e32 v5, 0x2000, v5
	s_andn2_b64 exec, exec, s[4:5]
	s_cbranch_execnz .LBB36_2
; %bb.3:
	s_or_b64 exec, exec, s[4:5]
	s_lshl_b64 s[4:5], s[10:11], 3
	s_lshl_b64 s[12:13], s[20:21], 3
	s_add_u32 s12, s4, s12
	s_addc_u32 s13, s5, s13
	s_lshl_b64 s[4:5], s[2:3], 3
	s_add_u32 s4, s12, s4
	s_addc_u32 s5, s13, s5
	s_add_u32 s4, s18, s4
	v_lshlrev_b32_e32 v2, 3, v0
	s_addc_u32 s5, s19, s5
	v_mov_b32_e32 v3, s5
	v_add_co_u32_e32 v4, vcc, s4, v2
	v_mov_b32_e32 v2, 0
	v_addc_co_u32_e32 v5, vcc, 0, v3, vcc
	s_mov_b64 s[4:5], 0
	v_mov_b32_e32 v6, v0
	v_mov_b32_e32 v3, v2
.LBB36_4:                               ; =>This Inner Loop Header: Depth=1
	global_load_dwordx2 v[8:9], v[4:5], off
	ds_read_b64 v[10:11], v1
	v_add_co_u32_e32 v4, vcc, 0x2000, v4
	v_add_u32_e32 v6, 0x400, v6
	v_addc_co_u32_e32 v5, vcc, 0, v5, vcc
	v_cmp_le_i32_e32 vcc, s9, v6
	v_add_u32_e32 v1, 0x2000, v1
	s_or_b64 s[4:5], vcc, s[4:5]
	s_waitcnt vmcnt(0)
	v_mov_b32_e32 v12, v9
	s_waitcnt lgkmcnt(0)
	v_pk_mul_f32 v[14:15], v[8:9], v[10:11] op_sel:[0,1] op_sel_hi:[1,0]
	v_pk_mul_f32 v[12:13], v[12:13], v[10:11] op_sel:[0,1] op_sel_hi:[1,0]
	v_mov_b32_e32 v14, v15
	v_pk_fma_f32 v[12:13], v[8:9], v[10:11], v[12:13]
	v_pk_fma_f32 v[8:9], v[8:9], v[10:11], v[14:15] op_sel:[0,1,0] op_sel_hi:[1,0,1] neg_lo:[0,0,1] neg_hi:[0,0,1]
	v_mov_b32_e32 v9, v12
	v_pk_add_f32 v[2:3], v[2:3], v[8:9]
	s_andn2_b64 exec, exec, s[4:5]
	s_cbranch_execnz .LBB36_4
; %bb.5:
	s_or_b64 exec, exec, s[4:5]
	v_mov_b32_e32 v5, v2
	v_mov_b32_e32 v4, v3
.LBB36_6:
	s_or_b64 exec, exec, s[6:7]
	v_mbcnt_lo_u32_b32 v1, -1, 0
	v_mbcnt_hi_u32_b32 v1, -1, v1
	v_and_b32_e32 v6, 63, v1
	v_cmp_ne_u32_e32 vcc, 63, v6
	v_addc_co_u32_e32 v2, vcc, 0, v1, vcc
	v_lshlrev_b32_e32 v3, 2, v2
	ds_bpermute_b32 v2, v3, v4
	ds_bpermute_b32 v3, v3, v5
	v_cmp_gt_u32_e32 vcc, 62, v6
	v_cndmask_b32_e64 v7, 0, 1, vcc
	v_lshlrev_b32_e32 v7, 1, v7
	v_add_lshl_u32 v7, v7, v1, 2
	s_waitcnt lgkmcnt(0)
	v_pk_add_f32 v[2:3], v[4:5], v[2:3]
	ds_bpermute_b32 v4, v7, v2
	ds_bpermute_b32 v5, v7, v3
	v_cmp_gt_u32_e32 vcc, 60, v6
	v_cndmask_b32_e64 v7, 0, 1, vcc
	v_lshlrev_b32_e32 v7, 2, v7
	v_add_lshl_u32 v7, v7, v1, 2
	s_waitcnt lgkmcnt(0)
	v_pk_add_f32 v[2:3], v[2:3], v[4:5]
	ds_bpermute_b32 v4, v7, v2
	ds_bpermute_b32 v5, v7, v3
	v_cmp_gt_u32_e32 vcc, 56, v6
	v_cndmask_b32_e64 v7, 0, 1, vcc
	v_lshlrev_b32_e32 v7, 3, v7
	v_add_lshl_u32 v7, v7, v1, 2
	s_waitcnt lgkmcnt(0)
	v_pk_add_f32 v[2:3], v[2:3], v[4:5]
	ds_bpermute_b32 v4, v7, v2
	ds_bpermute_b32 v5, v7, v3
	v_cmp_gt_u32_e32 vcc, 48, v6
	v_cndmask_b32_e64 v7, 0, 1, vcc
	v_lshlrev_b32_e32 v7, 4, v7
	v_add_lshl_u32 v7, v7, v1, 2
	s_waitcnt lgkmcnt(0)
	v_pk_add_f32 v[2:3], v[2:3], v[4:5]
	ds_bpermute_b32 v4, v7, v2
	ds_bpermute_b32 v5, v7, v3
	v_cmp_gt_u32_e32 vcc, 32, v6
	v_cndmask_b32_e64 v6, 0, 1, vcc
	v_lshlrev_b32_e32 v6, 5, v6
	v_add_lshl_u32 v1, v6, v1, 2
	s_waitcnt lgkmcnt(0)
	v_pk_add_f32 v[2:3], v[2:3], v[4:5]
	ds_bpermute_b32 v4, v1, v2
	ds_bpermute_b32 v5, v1, v3
	v_and_b32_e32 v1, 63, v0
	v_cmp_eq_u32_e32 vcc, 0, v1
	s_waitcnt lgkmcnt(0)
	v_pk_add_f32 v[2:3], v[2:3], v[4:5]
	s_and_saveexec_b64 s[4:5], vcc
	s_cbranch_execz .LBB36_8
; %bb.7:
	v_lshrrev_b32_e32 v1, 3, v0
	v_add_u32_e32 v1, 0, v1
	ds_write2_b32 v1, v2, v3 offset1:1
.LBB36_8:
	s_or_b64 exec, exec, s[4:5]
	v_cmp_eq_u32_e32 vcc, 0, v0
	s_waitcnt lgkmcnt(0)
	s_barrier
	s_and_saveexec_b64 s[4:5], vcc
	s_cbranch_execz .LBB36_10
; %bb.9:
	v_mov_b32_e32 v1, 0
	ds_read2_b64 v[4:7], v1 offset0:1 offset1:2
	ds_read2_b64 v[8:11], v1 offset0:3 offset1:4
	;; [unrolled: 1-line block ×4, first 2 shown]
	s_waitcnt lgkmcnt(3)
	v_pk_add_f32 v[2:3], v[2:3], v[4:5]
	v_pk_add_f32 v[2:3], v[2:3], v[6:7]
	s_waitcnt lgkmcnt(2)
	v_pk_add_f32 v[2:3], v[2:3], v[8:9]
	v_pk_add_f32 v[2:3], v[2:3], v[10:11]
	s_waitcnt lgkmcnt(1)
	v_pk_add_f32 v[6:7], v[2:3], v[12:13]
	ds_read2_b64 v[2:5], v1 offset0:9 offset1:10
	v_pk_add_f32 v[6:7], v[6:7], v[14:15]
	s_waitcnt lgkmcnt(1)
	v_pk_add_f32 v[6:7], v[6:7], v[16:17]
	v_pk_add_f32 v[10:11], v[6:7], v[18:19]
	ds_read2_b64 v[6:9], v1 offset0:11 offset1:12
	s_waitcnt lgkmcnt(1)
	v_pk_add_f32 v[2:3], v[10:11], v[2:3]
	ds_read2_b64 v[10:13], v1 offset0:13 offset1:14
	v_pk_add_f32 v[2:3], v[2:3], v[4:5]
	ds_read_b64 v[4:5], v1 offset:120
	s_waitcnt lgkmcnt(2)
	v_pk_add_f32 v[2:3], v[2:3], v[6:7]
	v_pk_add_f32 v[2:3], v[2:3], v[8:9]
	s_waitcnt lgkmcnt(1)
	v_pk_add_f32 v[2:3], v[2:3], v[10:11]
	v_pk_add_f32 v[2:3], v[2:3], v[12:13]
	s_waitcnt lgkmcnt(0)
	v_pk_add_f32 v[2:3], v[2:3], v[4:5]
	ds_write_b64 v1, v[2:3]
.LBB36_10:
	s_or_b64 exec, exec, s[4:5]
	s_waitcnt lgkmcnt(0)
	s_barrier
	s_and_saveexec_b64 s[4:5], s[0:1]
	s_cbranch_execz .LBB36_20
; %bb.11:
	s_mul_i32 s0, s8, s17
	s_mul_hi_u32 s1, s8, s16
	s_add_i32 s0, s1, s0
	s_mul_i32 s1, s22, s16
	s_add_i32 s1, s0, s1
	s_mul_i32 s0, s8, s16
	s_lshl_b64 s[0:1], s[0:1], 3
	s_add_u32 s0, s14, s0
	s_addc_u32 s1, s15, s1
	v_mov_b32_e32 v7, 0
	s_load_dwordx2 s[0:1], s[0:1], 0x0
	ds_read_b64 v[4:5], v7
	s_mov_b64 s[4:5], 0
	s_waitcnt lgkmcnt(0)
	v_mul_f32_e32 v1, s1, v5
	v_fma_f32 v2, v4, -s0, -v1
	v_mul_f32_e32 v1, s1, v4
	v_fma_f32 v4, s0, v5, -v1
	v_xad_u32 v1, v0, -1, s9
	s_movk_i32 s0, 0x3ff
	v_cmp_lt_u32_e32 vcc, s0, v1
	s_and_saveexec_b64 s[0:1], vcc
	s_xor_b64 s[0:1], exec, s[0:1]
	s_cbranch_execnz .LBB36_14
; %bb.12:
	s_andn2_saveexec_b64 s[0:1], s[0:1]
	s_cbranch_execnz .LBB36_17
.LBB36_13:
	s_or_b64 exec, exec, s[0:1]
	s_and_b64 exec, exec, s[4:5]
	s_cbranch_execnz .LBB36_18
	s_branch .LBB36_20
.LBB36_14:
	s_lshl_b64 s[4:5], s[10:11], 3
	s_add_u32 s6, s18, s4
	s_addc_u32 s7, s19, s5
	s_lshl_b64 s[4:5], s[2:3], 3
	s_add_u32 s6, s6, s4
	v_lshrrev_b32_e32 v1, 10, v1
	s_addc_u32 s7, s7, s5
	s_lshl_b64 s[4:5], s[20:21], 3
	v_add_u32_e32 v10, 1, v1
	s_add_u32 s6, s6, s4
	s_addc_u32 s7, s7, s5
	v_and_b32_e32 v11, 0x7ffffe, v10
	v_or_b32_e32 v1, 0x400, v0
	v_lshl_add_u32 v6, v0, 3, 0
	v_mov_b32_e32 v3, v2
	v_mov_b32_e32 v5, v4
	v_add_u32_e32 v12, 0x80, v6
	s_mov_b64 s[4:5], 0
	v_mov_b32_e32 v13, s7
	v_mov_b32_e32 v14, v11
	v_pk_mov_b32 v[8:9], v[0:1], v[0:1] op_sel:[0,1]
.LBB36_15:                              ; =>This Inner Loop Header: Depth=1
	v_mov_b32_e32 v6, v8
	v_lshlrev_b64 v[16:17], 3, v[6:7]
	v_mov_b32_e32 v6, v9
	v_add_co_u32_e32 v20, vcc, s6, v16
	v_addc_co_u32_e32 v21, vcc, v13, v17, vcc
	v_lshlrev_b64 v[16:17], 3, v[6:7]
	v_add_co_u32_e32 v22, vcc, s6, v16
	v_addc_co_u32_e32 v23, vcc, v13, v17, vcc
	global_load_dwordx2 v[24:25], v[20:21], off
	global_load_dwordx2 v[26:27], v[22:23], off
	ds_read2st64_b64 v[16:19], v12 offset1:16
	v_add_u32_e32 v14, -2, v14
	v_cmp_eq_u32_e32 vcc, 0, v14
	v_add_u32_e32 v8, 0x800, v8
	v_add_u32_e32 v12, 0x4000, v12
	s_waitcnt lgkmcnt(0)
	v_mov_b32_e32 v29, v18
	v_mov_b32_e32 v18, v17
	;; [unrolled: 1-line block ×3, first 2 shown]
	v_pk_mul_f32 v[16:17], v[4:5], v[18:19]
	v_pk_mul_f32 v[18:19], v[2:3], v[18:19]
	v_pk_fma_f32 v[16:17], v[2:3], v[28:29], v[16:17] neg_lo:[0,0,1] neg_hi:[0,0,1]
	v_pk_fma_f32 v[18:19], v[4:5], v[28:29], v[18:19]
	v_add_u32_e32 v9, 0x800, v9
	s_or_b64 s[4:5], vcc, s[4:5]
	s_waitcnt vmcnt(1)
	v_mov_b32_e32 v28, v24
	s_waitcnt vmcnt(0)
	v_mov_b32_e32 v29, v26
	v_mov_b32_e32 v26, v25
	v_pk_add_f32 v[16:17], v[28:29], v[16:17]
	v_pk_add_f32 v[18:19], v[26:27], v[18:19]
	v_mov_b32_e32 v24, v16
	v_mov_b32_e32 v25, v18
	;; [unrolled: 1-line block ×3, first 2 shown]
	global_store_dwordx2 v[20:21], v[24:25], off
	global_store_dwordx2 v[22:23], v[18:19], off
	s_andn2_b64 exec, exec, s[4:5]
	s_cbranch_execnz .LBB36_15
; %bb.16:
	s_or_b64 exec, exec, s[4:5]
	v_cmp_ne_u32_e32 vcc, v10, v11
	v_lshl_or_b32 v0, v11, 10, v0
	s_and_b64 s[4:5], vcc, exec
	s_andn2_saveexec_b64 s[0:1], s[0:1]
	s_cbranch_execz .LBB36_13
.LBB36_17:
	s_or_b64 s[4:5], s[4:5], exec
	s_or_b64 exec, exec, s[0:1]
	s_and_b64 exec, exec, s[4:5]
	s_cbranch_execz .LBB36_20
.LBB36_18:
	s_lshl_b64 s[0:1], s[10:11], 3
	s_lshl_b64 s[4:5], s[20:21], 3
	s_add_u32 s4, s0, s4
	s_addc_u32 s5, s1, s5
	s_lshl_b64 s[0:1], s[2:3], 3
	s_add_u32 s0, s4, s0
	v_lshl_add_u32 v1, v0, 3, 0
	s_addc_u32 s1, s5, s1
	v_add_u32_e32 v8, 0x80, v1
	v_mov_b32_e32 v1, 0
	s_add_u32 s0, s18, s0
	v_lshlrev_b64 v[6:7], 3, v[0:1]
	s_addc_u32 s1, s19, s1
	v_mov_b32_e32 v1, s1
	v_add_co_u32_e32 v6, vcc, s0, v6
	v_mov_b32_e32 v5, v4
	v_mov_b32_e32 v3, v2
	v_addc_co_u32_e32 v7, vcc, v1, v7, vcc
	s_mov_b64 s[0:1], 0
.LBB36_19:                              ; =>This Inner Loop Header: Depth=1
	global_load_dwordx2 v[10:11], v[6:7], off
	ds_read_b64 v[12:13], v8
	v_add_u32_e32 v0, 0x400, v0
	v_cmp_le_i32_e32 vcc, s9, v0
	s_or_b64 s[0:1], vcc, s[0:1]
	v_add_u32_e32 v8, 0x2000, v8
	s_waitcnt lgkmcnt(0)
	v_pk_mul_f32 v[14:15], v[4:5], v[12:13]
	v_pk_fma_f32 v[16:17], v[2:3], v[12:13], v[14:15] op_sel:[0,0,1] op_sel_hi:[1,1,0] neg_lo:[0,0,1] neg_hi:[0,0,1]
	v_pk_fma_f32 v[12:13], v[2:3], v[12:13], v[14:15] op_sel:[0,0,1] op_sel_hi:[1,1,0]
	v_mov_b32_e32 v17, v13
	s_waitcnt vmcnt(0)
	v_pk_add_f32 v[10:11], v[10:11], v[16:17]
	global_store_dwordx2 v[6:7], v[10:11], off
	v_add_co_u32_e32 v6, vcc, 0x2000, v6
	v_addc_co_u32_e32 v7, vcc, 0, v7, vcc
	s_andn2_b64 exec, exec, s[0:1]
	s_cbranch_execnz .LBB36_19
.LBB36_20:
	s_endpgm
	.section	.rodata,"a",@progbits
	.p2align	6, 0x0
	.amdhsa_kernel _ZN9rocsolver6v33100L16larf_left_kernelILi1024E19rocblas_complex_numIfEiPS3_EEvT1_S5_T2_lS5_lPKT0_lS6_lS5_l
		.amdhsa_group_segment_fixed_size 0
		.amdhsa_private_segment_fixed_size 0
		.amdhsa_kernarg_size 88
		.amdhsa_user_sgpr_count 6
		.amdhsa_user_sgpr_private_segment_buffer 1
		.amdhsa_user_sgpr_dispatch_ptr 0
		.amdhsa_user_sgpr_queue_ptr 0
		.amdhsa_user_sgpr_kernarg_segment_ptr 1
		.amdhsa_user_sgpr_dispatch_id 0
		.amdhsa_user_sgpr_flat_scratch_init 0
		.amdhsa_user_sgpr_kernarg_preload_length 0
		.amdhsa_user_sgpr_kernarg_preload_offset 0
		.amdhsa_user_sgpr_private_segment_size 0
		.amdhsa_uses_dynamic_stack 0
		.amdhsa_system_sgpr_private_segment_wavefront_offset 0
		.amdhsa_system_sgpr_workgroup_id_x 1
		.amdhsa_system_sgpr_workgroup_id_y 1
		.amdhsa_system_sgpr_workgroup_id_z 1
		.amdhsa_system_sgpr_workgroup_info 0
		.amdhsa_system_vgpr_workitem_id 0
		.amdhsa_next_free_vgpr 30
		.amdhsa_next_free_sgpr 32
		.amdhsa_accum_offset 32
		.amdhsa_reserve_vcc 1
		.amdhsa_reserve_flat_scratch 0
		.amdhsa_float_round_mode_32 0
		.amdhsa_float_round_mode_16_64 0
		.amdhsa_float_denorm_mode_32 3
		.amdhsa_float_denorm_mode_16_64 3
		.amdhsa_dx10_clamp 1
		.amdhsa_ieee_mode 1
		.amdhsa_fp16_overflow 0
		.amdhsa_tg_split 0
		.amdhsa_exception_fp_ieee_invalid_op 0
		.amdhsa_exception_fp_denorm_src 0
		.amdhsa_exception_fp_ieee_div_zero 0
		.amdhsa_exception_fp_ieee_overflow 0
		.amdhsa_exception_fp_ieee_underflow 0
		.amdhsa_exception_fp_ieee_inexact 0
		.amdhsa_exception_int_div_zero 0
	.end_amdhsa_kernel
	.section	.text._ZN9rocsolver6v33100L16larf_left_kernelILi1024E19rocblas_complex_numIfEiPS3_EEvT1_S5_T2_lS5_lPKT0_lS6_lS5_l,"axG",@progbits,_ZN9rocsolver6v33100L16larf_left_kernelILi1024E19rocblas_complex_numIfEiPS3_EEvT1_S5_T2_lS5_lPKT0_lS6_lS5_l,comdat
.Lfunc_end36:
	.size	_ZN9rocsolver6v33100L16larf_left_kernelILi1024E19rocblas_complex_numIfEiPS3_EEvT1_S5_T2_lS5_lPKT0_lS6_lS5_l, .Lfunc_end36-_ZN9rocsolver6v33100L16larf_left_kernelILi1024E19rocblas_complex_numIfEiPS3_EEvT1_S5_T2_lS5_lPKT0_lS6_lS5_l
                                        ; -- End function
	.section	.AMDGPU.csdata,"",@progbits
; Kernel info:
; codeLenInByte = 1884
; NumSgprs: 36
; NumVgprs: 30
; NumAgprs: 0
; TotalNumVgprs: 30
; ScratchSize: 0
; MemoryBound: 0
; FloatMode: 240
; IeeeMode: 1
; LDSByteSize: 0 bytes/workgroup (compile time only)
; SGPRBlocks: 4
; VGPRBlocks: 3
; NumSGPRsForWavesPerEU: 36
; NumVGPRsForWavesPerEU: 30
; AccumOffset: 32
; Occupancy: 8
; WaveLimiterHint : 0
; COMPUTE_PGM_RSRC2:SCRATCH_EN: 0
; COMPUTE_PGM_RSRC2:USER_SGPR: 6
; COMPUTE_PGM_RSRC2:TRAP_HANDLER: 0
; COMPUTE_PGM_RSRC2:TGID_X_EN: 1
; COMPUTE_PGM_RSRC2:TGID_Y_EN: 1
; COMPUTE_PGM_RSRC2:TGID_Z_EN: 1
; COMPUTE_PGM_RSRC2:TIDIG_COMP_CNT: 0
; COMPUTE_PGM_RSRC3_GFX90A:ACCUM_OFFSET: 7
; COMPUTE_PGM_RSRC3_GFX90A:TG_SPLIT: 0
	.section	.text._ZN9rocsolver6v33100L17larf_right_kernelILi1024E19rocblas_complex_numIfEiPS3_EEvT1_S5_T2_lS5_lPKT0_lS6_lS5_l,"axG",@progbits,_ZN9rocsolver6v33100L17larf_right_kernelILi1024E19rocblas_complex_numIfEiPS3_EEvT1_S5_T2_lS5_lPKT0_lS6_lS5_l,comdat
	.globl	_ZN9rocsolver6v33100L17larf_right_kernelILi1024E19rocblas_complex_numIfEiPS3_EEvT1_S5_T2_lS5_lPKT0_lS6_lS5_l ; -- Begin function _ZN9rocsolver6v33100L17larf_right_kernelILi1024E19rocblas_complex_numIfEiPS3_EEvT1_S5_T2_lS5_lPKT0_lS6_lS5_l
	.p2align	8
	.type	_ZN9rocsolver6v33100L17larf_right_kernelILi1024E19rocblas_complex_numIfEiPS3_EEvT1_S5_T2_lS5_lPKT0_lS6_lS5_l,@function
_ZN9rocsolver6v33100L17larf_right_kernelILi1024E19rocblas_complex_numIfEiPS3_EEvT1_S5_T2_lS5_lPKT0_lS6_lS5_l: ; @_ZN9rocsolver6v33100L17larf_right_kernelILi1024E19rocblas_complex_numIfEiPS3_EEvT1_S5_T2_lS5_lPKT0_lS6_lS5_l
; %bb.0:
	s_load_dword s9, s[4:5], 0x4
	s_load_dwordx8 s[12:19], s[4:5], 0x20
	s_load_dwordx2 s[10:11], s[4:5], 0x40
	s_load_dword s2, s[4:5], 0x48
	s_load_dwordx2 s[0:1], s[4:5], 0x50
	s_ashr_i32 s27, s8, 31
	v_mov_b32_e32 v3, 0
	s_mov_b32 s6, s7
	s_ashr_i32 s7, s7, 31
	s_waitcnt lgkmcnt(0)
	v_cmp_gt_i32_e32 vcc, s9, v0
	v_lshl_add_u32 v1, v0, 3, 0
	s_mul_i32 s24, s0, s27
	s_mul_hi_u32 s25, s0, s8
	s_mul_i32 s26, s1, s8
	s_mul_i32 s20, s0, s8
	v_mov_b32_e32 v2, v3
	s_and_saveexec_b64 s[22:23], vcc
	s_cbranch_execz .LBB37_6
; %bb.1:
	s_load_dword s34, s[4:5], 0x18
	s_load_dwordx4 s[28:31], s[4:5], 0x8
	s_sub_i32 s0, 1, s9
	s_mul_hi_u32 s4, s12, s8
	v_add_u32_e32 v6, 0x80, v1
	s_waitcnt lgkmcnt(0)
	s_ashr_i32 s35, s34, 31
	s_mul_i32 s3, s0, s34
	v_cmp_lt_i64_e64 s[0:1], s[34:35], 1
	s_and_b64 s[0:1], s[0:1], exec
	s_cselect_b32 s0, s3, 0
	s_mul_i32 s3, s12, s27
	s_add_i32 s3, s4, s3
	s_mul_i32 s4, s13, s8
	s_ashr_i32 s1, s0, 31
	s_add_i32 s5, s3, s4
	s_mul_i32 s4, s12, s8
	v_mad_i64_i32 v[2:3], s[12:13], s34, v0, 0
	s_lshl_b64 s[4:5], s[4:5], 3
	s_lshl_b64 s[12:13], s[30:31], 3
	;; [unrolled: 1-line block ×3, first 2 shown]
	s_add_u32 s0, s28, s0
	s_addc_u32 s1, s29, s1
	s_add_u32 s0, s0, s12
	s_addc_u32 s1, s1, s13
	s_add_u32 s0, s0, s4
	v_lshlrev_b64 v[2:3], 3, v[2:3]
	s_addc_u32 s1, s1, s5
	v_mov_b32_e32 v4, s1
	v_add_co_u32_e64 v2, s[0:1], s0, v2
	s_lshl_b64 s[12:13], s[34:35], 13
	v_addc_co_u32_e64 v3, s[0:1], v4, v3, s[0:1]
	s_mov_b64 s[4:5], 0
	v_mov_b32_e32 v4, s13
	v_mov_b32_e32 v5, v6
	;; [unrolled: 1-line block ×3, first 2 shown]
.LBB37_2:                               ; =>This Inner Loop Header: Depth=1
	global_load_dwordx2 v[8:9], v[2:3], off
	v_add_co_u32_e64 v2, s[0:1], s12, v2
	v_add_u32_e32 v7, 0x400, v7
	v_addc_co_u32_e64 v3, s[0:1], v3, v4, s[0:1]
	v_cmp_le_i32_e64 s[0:1], s9, v7
	s_or_b64 s[4:5], s[0:1], s[4:5]
	s_waitcnt vmcnt(0)
	ds_write_b64 v5, v[8:9]
	v_add_u32_e32 v5, 0x2000, v5
	s_andn2_b64 exec, exec, s[4:5]
	s_cbranch_execnz .LBB37_2
; %bb.3:
	s_or_b64 exec, exec, s[4:5]
	s_add_i32 s0, s25, s24
	s_add_i32 s21, s0, s26
	v_mad_i64_i32 v[2:3], s[4:5], s2, v0, 0
	s_ashr_i32 s3, s2, 31
	s_lshl_b64 s[0:1], s[20:21], 3
	s_lshl_b64 s[4:5], s[10:11], 3
	;; [unrolled: 1-line block ×3, first 2 shown]
	s_add_u32 s12, s18, s12
	s_addc_u32 s13, s19, s13
	s_add_u32 s4, s12, s4
	s_addc_u32 s5, s13, s5
	s_add_u32 s0, s4, s0
	v_lshlrev_b64 v[2:3], 3, v[2:3]
	s_addc_u32 s1, s5, s1
	v_mov_b32_e32 v5, s1
	v_add_co_u32_e64 v4, s[0:1], s0, v2
	v_addc_co_u32_e64 v5, s[0:1], v5, v3, s[0:1]
	s_lshl_b64 s[12:13], s[2:3], 13
	v_mov_b32_e32 v3, 0
	s_mov_b64 s[4:5], 0
	v_mov_b32_e32 v7, s13
	v_mov_b32_e32 v8, v0
	v_mov_b32_e32 v2, v3
.LBB37_4:                               ; =>This Inner Loop Header: Depth=1
	global_load_dwordx2 v[10:11], v[4:5], off
	ds_read_b64 v[12:13], v6
	v_add_co_u32_e64 v4, s[0:1], s12, v4
	v_add_u32_e32 v8, 0x400, v8
	v_addc_co_u32_e64 v5, s[0:1], v5, v7, s[0:1]
	v_cmp_le_i32_e64 s[0:1], s9, v8
	v_add_u32_e32 v6, 0x2000, v6
	s_or_b64 s[4:5], s[0:1], s[4:5]
	s_waitcnt vmcnt(0) lgkmcnt(0)
	v_mul_f32_e32 v9, v13, v11
	v_mul_f32_e32 v11, v12, v11
	v_fma_f32 v9, v12, v10, -v9
	v_fmac_f32_e32 v11, v13, v10
	v_add_f32_e32 v2, v2, v9
	v_add_f32_e32 v3, v3, v11
	s_andn2_b64 exec, exec, s[4:5]
	s_cbranch_execnz .LBB37_4
; %bb.5:
	s_or_b64 exec, exec, s[4:5]
.LBB37_6:
	s_or_b64 exec, exec, s[22:23]
	v_mbcnt_lo_u32_b32 v4, -1, 0
	v_mbcnt_hi_u32_b32 v6, -1, v4
	v_and_b32_e32 v7, 63, v6
	v_cmp_ne_u32_e64 s[0:1], 63, v7
	v_addc_co_u32_e64 v4, s[0:1], 0, v6, s[0:1]
	v_lshlrev_b32_e32 v5, 2, v4
	ds_bpermute_b32 v4, v5, v2
	ds_bpermute_b32 v5, v5, v3
	v_cmp_gt_u32_e64 s[0:1], 62, v7
	v_cndmask_b32_e64 v8, 0, 1, s[0:1]
	v_lshlrev_b32_e32 v8, 1, v8
	v_add_lshl_u32 v8, v8, v6, 2
	s_waitcnt lgkmcnt(0)
	v_pk_add_f32 v[2:3], v[2:3], v[4:5]
	ds_bpermute_b32 v4, v8, v2
	ds_bpermute_b32 v5, v8, v3
	v_cmp_gt_u32_e64 s[0:1], 60, v7
	v_cndmask_b32_e64 v8, 0, 1, s[0:1]
	v_lshlrev_b32_e32 v8, 2, v8
	v_add_lshl_u32 v8, v8, v6, 2
	s_waitcnt lgkmcnt(0)
	v_pk_add_f32 v[2:3], v[2:3], v[4:5]
	;; [unrolled: 8-line block ×5, first 2 shown]
	ds_bpermute_b32 v4, v6, v2
	ds_bpermute_b32 v5, v6, v3
	s_waitcnt lgkmcnt(0)
	v_pk_add_f32 v[2:3], v[2:3], v[4:5]
	v_and_b32_e32 v4, 63, v0
	v_cmp_eq_u32_e64 s[0:1], 0, v4
	s_and_saveexec_b64 s[4:5], s[0:1]
	s_cbranch_execz .LBB37_8
; %bb.7:
	v_lshrrev_b32_e32 v4, 3, v0
	v_add_u32_e32 v4, 0, v4
	ds_write2_b32 v4, v2, v3 offset1:1
.LBB37_8:
	s_or_b64 exec, exec, s[4:5]
	v_cmp_eq_u32_e64 s[0:1], 0, v0
	s_waitcnt lgkmcnt(0)
	s_barrier
	s_and_saveexec_b64 s[4:5], s[0:1]
	s_cbranch_execz .LBB37_10
; %bb.9:
	v_mov_b32_e32 v20, 0
	ds_read2_b64 v[4:7], v20 offset0:1 offset1:2
	ds_read2_b64 v[8:11], v20 offset0:3 offset1:4
	;; [unrolled: 1-line block ×4, first 2 shown]
	s_waitcnt lgkmcnt(3)
	v_pk_add_f32 v[2:3], v[2:3], v[4:5]
	v_pk_add_f32 v[2:3], v[2:3], v[6:7]
	s_waitcnt lgkmcnt(2)
	v_pk_add_f32 v[2:3], v[2:3], v[8:9]
	v_pk_add_f32 v[2:3], v[2:3], v[10:11]
	s_waitcnt lgkmcnt(1)
	v_pk_add_f32 v[6:7], v[2:3], v[12:13]
	ds_read2_b64 v[2:5], v20 offset0:9 offset1:10
	v_pk_add_f32 v[6:7], v[6:7], v[14:15]
	s_waitcnt lgkmcnt(1)
	v_pk_add_f32 v[6:7], v[6:7], v[16:17]
	v_pk_add_f32 v[10:11], v[6:7], v[18:19]
	ds_read2_b64 v[6:9], v20 offset0:11 offset1:12
	s_waitcnt lgkmcnt(1)
	v_pk_add_f32 v[2:3], v[10:11], v[2:3]
	ds_read2_b64 v[10:13], v20 offset0:13 offset1:14
	v_pk_add_f32 v[2:3], v[2:3], v[4:5]
	ds_read_b64 v[4:5], v20 offset:120
	s_waitcnt lgkmcnt(2)
	v_pk_add_f32 v[2:3], v[2:3], v[6:7]
	v_pk_add_f32 v[2:3], v[2:3], v[8:9]
	s_waitcnt lgkmcnt(1)
	v_pk_add_f32 v[2:3], v[2:3], v[10:11]
	v_pk_add_f32 v[2:3], v[2:3], v[12:13]
	s_waitcnt lgkmcnt(0)
	v_pk_add_f32 v[2:3], v[2:3], v[4:5]
	ds_write_b64 v20, v[2:3]
.LBB37_10:
	s_or_b64 exec, exec, s[4:5]
	s_waitcnt lgkmcnt(0)
	s_barrier
	s_and_saveexec_b64 s[0:1], vcc
	s_cbranch_execz .LBB37_13
; %bb.11:
	s_mul_i32 s0, s8, s17
	s_mul_hi_u32 s1, s8, s16
	s_add_i32 s0, s1, s0
	s_mul_i32 s1, s27, s16
	s_add_i32 s1, s0, s1
	s_mul_i32 s0, s8, s16
	s_lshl_b64 s[0:1], s[0:1], 3
	s_add_u32 s0, s14, s0
	s_addc_u32 s1, s15, s1
	v_mov_b32_e32 v2, 0
	ds_read_b64 v[4:5], v2
	s_load_dwordx2 s[0:1], s[0:1], 0x0
	v_mad_i64_i32 v[6:7], s[4:5], s2, v0, 0
	s_ashr_i32 s3, s2, 31
	s_lshl_b64 s[4:5], s[10:11], 3
	s_waitcnt lgkmcnt(0)
	v_mul_f32_e32 v2, s0, v5
	v_mul_f32_e32 v3, s0, v4
	s_add_i32 s0, s25, s24
	s_add_i32 s21, s0, s26
	v_fma_f32 v2, v4, -s1, -v2
	v_fma_f32 v4, s1, v5, -v3
	s_lshl_b64 s[0:1], s[20:21], 3
	s_lshl_b64 s[6:7], s[6:7], 3
	s_add_u32 s6, s18, s6
	s_addc_u32 s7, s19, s7
	s_add_u32 s4, s6, s4
	s_addc_u32 s5, s7, s5
	s_add_u32 s0, s4, s0
	v_lshlrev_b64 v[6:7], 3, v[6:7]
	s_addc_u32 s1, s5, s1
	v_mov_b32_e32 v8, s1
	v_add_co_u32_e32 v6, vcc, s0, v6
	s_lshl_b64 s[0:1], s[2:3], 13
	v_mov_b32_e32 v3, v2
	v_mov_b32_e32 v5, v4
	v_add_u32_e32 v1, 0x80, v1
	v_addc_co_u32_e32 v7, vcc, v8, v7, vcc
	s_mov_b64 s[2:3], 0
	v_mov_b32_e32 v8, s1
.LBB37_12:                              ; =>This Inner Loop Header: Depth=1
	global_load_dwordx2 v[10:11], v[6:7], off
	ds_read_b64 v[12:13], v1
	v_add_u32_e32 v0, 0x400, v0
	v_cmp_le_i32_e32 vcc, s9, v0
	s_or_b64 s[2:3], vcc, s[2:3]
	v_add_u32_e32 v1, 0x2000, v1
	s_waitcnt lgkmcnt(0)
	v_pk_mul_f32 v[14:15], v[2:3], v[12:13]
	v_pk_fma_f32 v[16:17], v[4:5], v[12:13], v[14:15] op_sel:[0,0,1] op_sel_hi:[1,1,0]
	v_pk_fma_f32 v[12:13], v[4:5], v[12:13], v[14:15] op_sel:[0,0,1] op_sel_hi:[1,1,0] neg_lo:[1,0,0] neg_hi:[1,0,0]
	v_mov_b32_e32 v17, v13
	s_waitcnt vmcnt(0)
	v_pk_add_f32 v[10:11], v[10:11], v[16:17]
	global_store_dwordx2 v[6:7], v[10:11], off
	v_add_co_u32_e32 v6, vcc, s0, v6
	v_addc_co_u32_e32 v7, vcc, v7, v8, vcc
	s_andn2_b64 exec, exec, s[2:3]
	s_cbranch_execnz .LBB37_12
.LBB37_13:
	s_endpgm
	.section	.rodata,"a",@progbits
	.p2align	6, 0x0
	.amdhsa_kernel _ZN9rocsolver6v33100L17larf_right_kernelILi1024E19rocblas_complex_numIfEiPS3_EEvT1_S5_T2_lS5_lPKT0_lS6_lS5_l
		.amdhsa_group_segment_fixed_size 0
		.amdhsa_private_segment_fixed_size 0
		.amdhsa_kernarg_size 88
		.amdhsa_user_sgpr_count 6
		.amdhsa_user_sgpr_private_segment_buffer 1
		.amdhsa_user_sgpr_dispatch_ptr 0
		.amdhsa_user_sgpr_queue_ptr 0
		.amdhsa_user_sgpr_kernarg_segment_ptr 1
		.amdhsa_user_sgpr_dispatch_id 0
		.amdhsa_user_sgpr_flat_scratch_init 0
		.amdhsa_user_sgpr_kernarg_preload_length 0
		.amdhsa_user_sgpr_kernarg_preload_offset 0
		.amdhsa_user_sgpr_private_segment_size 0
		.amdhsa_uses_dynamic_stack 0
		.amdhsa_system_sgpr_private_segment_wavefront_offset 0
		.amdhsa_system_sgpr_workgroup_id_x 1
		.amdhsa_system_sgpr_workgroup_id_y 1
		.amdhsa_system_sgpr_workgroup_id_z 1
		.amdhsa_system_sgpr_workgroup_info 0
		.amdhsa_system_vgpr_workitem_id 0
		.amdhsa_next_free_vgpr 21
		.amdhsa_next_free_sgpr 36
		.amdhsa_accum_offset 24
		.amdhsa_reserve_vcc 1
		.amdhsa_reserve_flat_scratch 0
		.amdhsa_float_round_mode_32 0
		.amdhsa_float_round_mode_16_64 0
		.amdhsa_float_denorm_mode_32 3
		.amdhsa_float_denorm_mode_16_64 3
		.amdhsa_dx10_clamp 1
		.amdhsa_ieee_mode 1
		.amdhsa_fp16_overflow 0
		.amdhsa_tg_split 0
		.amdhsa_exception_fp_ieee_invalid_op 0
		.amdhsa_exception_fp_denorm_src 0
		.amdhsa_exception_fp_ieee_div_zero 0
		.amdhsa_exception_fp_ieee_overflow 0
		.amdhsa_exception_fp_ieee_underflow 0
		.amdhsa_exception_fp_ieee_inexact 0
		.amdhsa_exception_int_div_zero 0
	.end_amdhsa_kernel
	.section	.text._ZN9rocsolver6v33100L17larf_right_kernelILi1024E19rocblas_complex_numIfEiPS3_EEvT1_S5_T2_lS5_lPKT0_lS6_lS5_l,"axG",@progbits,_ZN9rocsolver6v33100L17larf_right_kernelILi1024E19rocblas_complex_numIfEiPS3_EEvT1_S5_T2_lS5_lPKT0_lS6_lS5_l,comdat
.Lfunc_end37:
	.size	_ZN9rocsolver6v33100L17larf_right_kernelILi1024E19rocblas_complex_numIfEiPS3_EEvT1_S5_T2_lS5_lPKT0_lS6_lS5_l, .Lfunc_end37-_ZN9rocsolver6v33100L17larf_right_kernelILi1024E19rocblas_complex_numIfEiPS3_EEvT1_S5_T2_lS5_lPKT0_lS6_lS5_l
                                        ; -- End function
	.section	.AMDGPU.csdata,"",@progbits
; Kernel info:
; codeLenInByte = 1528
; NumSgprs: 40
; NumVgprs: 21
; NumAgprs: 0
; TotalNumVgprs: 21
; ScratchSize: 0
; MemoryBound: 0
; FloatMode: 240
; IeeeMode: 1
; LDSByteSize: 0 bytes/workgroup (compile time only)
; SGPRBlocks: 4
; VGPRBlocks: 2
; NumSGPRsForWavesPerEU: 40
; NumVGPRsForWavesPerEU: 21
; AccumOffset: 24
; Occupancy: 8
; WaveLimiterHint : 0
; COMPUTE_PGM_RSRC2:SCRATCH_EN: 0
; COMPUTE_PGM_RSRC2:USER_SGPR: 6
; COMPUTE_PGM_RSRC2:TRAP_HANDLER: 0
; COMPUTE_PGM_RSRC2:TGID_X_EN: 1
; COMPUTE_PGM_RSRC2:TGID_Y_EN: 1
; COMPUTE_PGM_RSRC2:TGID_Z_EN: 1
; COMPUTE_PGM_RSRC2:TIDIG_COMP_CNT: 0
; COMPUTE_PGM_RSRC3_GFX90A:ACCUM_OFFSET: 5
; COMPUTE_PGM_RSRC3_GFX90A:TG_SPLIT: 0
	.section	.text._ZN9rocsolver6v33100L12subtract_tauI19rocblas_complex_numIfEPS3_EEviiT0_iilPT_l,"axG",@progbits,_ZN9rocsolver6v33100L12subtract_tauI19rocblas_complex_numIfEPS3_EEviiT0_iilPT_l,comdat
	.globl	_ZN9rocsolver6v33100L12subtract_tauI19rocblas_complex_numIfEPS3_EEviiT0_iilPT_l ; -- Begin function _ZN9rocsolver6v33100L12subtract_tauI19rocblas_complex_numIfEPS3_EEviiT0_iilPT_l
	.p2align	8
	.type	_ZN9rocsolver6v33100L12subtract_tauI19rocblas_complex_numIfEPS3_EEviiT0_iilPT_l,@function
_ZN9rocsolver6v33100L12subtract_tauI19rocblas_complex_numIfEPS3_EEviiT0_iilPT_l: ; @_ZN9rocsolver6v33100L12subtract_tauI19rocblas_complex_numIfEPS3_EEviiT0_iilPT_l
; %bb.0:
	s_load_dwordx2 s[12:13], s[4:5], 0x10
	s_load_dwordx4 s[0:3], s[4:5], 0x18
	s_load_dwordx4 s[8:11], s[4:5], 0x0
	s_load_dwordx2 s[14:15], s[4:5], 0x28
	v_mov_b32_e32 v2, 0
	s_waitcnt lgkmcnt(0)
	s_ashr_i32 s5, s12, 31
	s_mul_i32 s1, s6, s1
	s_mul_hi_u32 s7, s6, s0
	s_add_i32 s1, s7, s1
	s_mul_i32 s0, s6, s0
	s_lshl_b64 s[0:1], s[0:1], 3
	s_mov_b32 s4, s12
	s_add_u32 s7, s10, s0
	s_addc_u32 s10, s11, s1
	s_lshl_b64 s[0:1], s[4:5], 3
	s_add_u32 s4, s7, s0
	s_addc_u32 s5, s10, s1
	s_mul_i32 s0, s6, s15
	s_mul_hi_u32 s1, s6, s14
	s_add_i32 s1, s1, s0
	s_mul_i32 s0, s6, s14
	s_lshl_b64 s[0:1], s[0:1], 3
	s_add_u32 s0, s2, s0
	s_addc_u32 s1, s3, s1
	s_load_dwordx2 s[2:3], s[0:1], 0x0
	s_waitcnt lgkmcnt(0)
	s_xor_b32 s3, s3, 0x80000000
	s_xor_b32 s6, s2, 0x80000000
	v_mov_b32_e32 v0, s6
	v_mov_b32_e32 v1, s3
	global_store_dwordx2 v2, v[0:1], s[0:1]
	s_mul_i32 s0, s13, s9
	s_add_i32 s0, s0, s8
	s_ashr_i32 s1, s0, 31
	s_lshl_b64 s[0:1], s[0:1], 3
	s_add_u32 s0, s4, s0
	v_sub_f32_e64 v0, 1.0, s2
	s_addc_u32 s1, s5, s1
	global_store_dwordx2 v2, v[0:1], s[0:1]
	s_endpgm
	.section	.rodata,"a",@progbits
	.p2align	6, 0x0
	.amdhsa_kernel _ZN9rocsolver6v33100L12subtract_tauI19rocblas_complex_numIfEPS3_EEviiT0_iilPT_l
		.amdhsa_group_segment_fixed_size 0
		.amdhsa_private_segment_fixed_size 0
		.amdhsa_kernarg_size 48
		.amdhsa_user_sgpr_count 6
		.amdhsa_user_sgpr_private_segment_buffer 1
		.amdhsa_user_sgpr_dispatch_ptr 0
		.amdhsa_user_sgpr_queue_ptr 0
		.amdhsa_user_sgpr_kernarg_segment_ptr 1
		.amdhsa_user_sgpr_dispatch_id 0
		.amdhsa_user_sgpr_flat_scratch_init 0
		.amdhsa_user_sgpr_kernarg_preload_length 0
		.amdhsa_user_sgpr_kernarg_preload_offset 0
		.amdhsa_user_sgpr_private_segment_size 0
		.amdhsa_uses_dynamic_stack 0
		.amdhsa_system_sgpr_private_segment_wavefront_offset 0
		.amdhsa_system_sgpr_workgroup_id_x 1
		.amdhsa_system_sgpr_workgroup_id_y 0
		.amdhsa_system_sgpr_workgroup_id_z 0
		.amdhsa_system_sgpr_workgroup_info 0
		.amdhsa_system_vgpr_workitem_id 0
		.amdhsa_next_free_vgpr 3
		.amdhsa_next_free_sgpr 16
		.amdhsa_accum_offset 4
		.amdhsa_reserve_vcc 0
		.amdhsa_reserve_flat_scratch 0
		.amdhsa_float_round_mode_32 0
		.amdhsa_float_round_mode_16_64 0
		.amdhsa_float_denorm_mode_32 3
		.amdhsa_float_denorm_mode_16_64 3
		.amdhsa_dx10_clamp 1
		.amdhsa_ieee_mode 1
		.amdhsa_fp16_overflow 0
		.amdhsa_tg_split 0
		.amdhsa_exception_fp_ieee_invalid_op 0
		.amdhsa_exception_fp_denorm_src 0
		.amdhsa_exception_fp_ieee_div_zero 0
		.amdhsa_exception_fp_ieee_overflow 0
		.amdhsa_exception_fp_ieee_underflow 0
		.amdhsa_exception_fp_ieee_inexact 0
		.amdhsa_exception_int_div_zero 0
	.end_amdhsa_kernel
	.section	.text._ZN9rocsolver6v33100L12subtract_tauI19rocblas_complex_numIfEPS3_EEviiT0_iilPT_l,"axG",@progbits,_ZN9rocsolver6v33100L12subtract_tauI19rocblas_complex_numIfEPS3_EEviiT0_iilPT_l,comdat
.Lfunc_end38:
	.size	_ZN9rocsolver6v33100L12subtract_tauI19rocblas_complex_numIfEPS3_EEviiT0_iilPT_l, .Lfunc_end38-_ZN9rocsolver6v33100L12subtract_tauI19rocblas_complex_numIfEPS3_EEviiT0_iilPT_l
                                        ; -- End function
	.section	.AMDGPU.csdata,"",@progbits
; Kernel info:
; codeLenInByte = 204
; NumSgprs: 20
; NumVgprs: 3
; NumAgprs: 0
; TotalNumVgprs: 3
; ScratchSize: 0
; MemoryBound: 0
; FloatMode: 240
; IeeeMode: 1
; LDSByteSize: 0 bytes/workgroup (compile time only)
; SGPRBlocks: 2
; VGPRBlocks: 0
; NumSGPRsForWavesPerEU: 20
; NumVGPRsForWavesPerEU: 3
; AccumOffset: 4
; Occupancy: 8
; WaveLimiterHint : 0
; COMPUTE_PGM_RSRC2:SCRATCH_EN: 0
; COMPUTE_PGM_RSRC2:USER_SGPR: 6
; COMPUTE_PGM_RSRC2:TRAP_HANDLER: 0
; COMPUTE_PGM_RSRC2:TGID_X_EN: 1
; COMPUTE_PGM_RSRC2:TGID_Y_EN: 0
; COMPUTE_PGM_RSRC2:TGID_Z_EN: 0
; COMPUTE_PGM_RSRC2:TIDIG_COMP_CNT: 0
; COMPUTE_PGM_RSRC3_GFX90A:ACCUM_OFFSET: 0
; COMPUTE_PGM_RSRC3_GFX90A:TG_SPLIT: 0
	.section	.text._ZN9rocsolver6v33100L6restauI19rocblas_complex_numIfEEEviPT_l,"axG",@progbits,_ZN9rocsolver6v33100L6restauI19rocblas_complex_numIfEEEviPT_l,comdat
	.globl	_ZN9rocsolver6v33100L6restauI19rocblas_complex_numIfEEEviPT_l ; -- Begin function _ZN9rocsolver6v33100L6restauI19rocblas_complex_numIfEEEviPT_l
	.p2align	8
	.type	_ZN9rocsolver6v33100L6restauI19rocblas_complex_numIfEEEviPT_l,@function
_ZN9rocsolver6v33100L6restauI19rocblas_complex_numIfEEEviPT_l: ; @_ZN9rocsolver6v33100L6restauI19rocblas_complex_numIfEEEviPT_l
; %bb.0:
	s_load_dword s0, s[4:5], 0x24
	s_load_dword s1, s[4:5], 0x0
	s_waitcnt lgkmcnt(0)
	s_and_b32 s0, s0, 0xffff
	s_mul_i32 s6, s6, s0
	v_add_u32_e32 v0, s6, v0
	v_cmp_gt_u32_e32 vcc, s1, v0
	s_and_saveexec_b64 s[0:1], vcc
	s_cbranch_execz .LBB39_2
; %bb.1:
	s_load_dwordx4 s[0:3], s[4:5], 0x8
	v_mov_b32_e32 v1, 0
	v_lshlrev_b64 v[0:1], 3, v[0:1]
	s_waitcnt lgkmcnt(0)
	s_mul_i32 s3, s7, s3
	s_mul_hi_u32 s4, s7, s2
	s_mul_i32 s2, s7, s2
	s_add_i32 s3, s4, s3
	s_lshl_b64 s[2:3], s[2:3], 3
	s_add_u32 s0, s0, s2
	s_addc_u32 s1, s1, s3
	v_mov_b32_e32 v2, s1
	v_add_co_u32_e32 v0, vcc, s0, v0
	v_addc_co_u32_e32 v1, vcc, v2, v1, vcc
	global_load_dwordx2 v[2:3], v[0:1], off
	s_waitcnt vmcnt(0)
	v_pk_add_f32 v[2:3], v[2:3], 0 neg_lo:[1,1] neg_hi:[1,1]
	global_store_dwordx2 v[0:1], v[2:3], off
.LBB39_2:
	s_endpgm
	.section	.rodata,"a",@progbits
	.p2align	6, 0x0
	.amdhsa_kernel _ZN9rocsolver6v33100L6restauI19rocblas_complex_numIfEEEviPT_l
		.amdhsa_group_segment_fixed_size 0
		.amdhsa_private_segment_fixed_size 0
		.amdhsa_kernarg_size 280
		.amdhsa_user_sgpr_count 6
		.amdhsa_user_sgpr_private_segment_buffer 1
		.amdhsa_user_sgpr_dispatch_ptr 0
		.amdhsa_user_sgpr_queue_ptr 0
		.amdhsa_user_sgpr_kernarg_segment_ptr 1
		.amdhsa_user_sgpr_dispatch_id 0
		.amdhsa_user_sgpr_flat_scratch_init 0
		.amdhsa_user_sgpr_kernarg_preload_length 0
		.amdhsa_user_sgpr_kernarg_preload_offset 0
		.amdhsa_user_sgpr_private_segment_size 0
		.amdhsa_uses_dynamic_stack 0
		.amdhsa_system_sgpr_private_segment_wavefront_offset 0
		.amdhsa_system_sgpr_workgroup_id_x 1
		.amdhsa_system_sgpr_workgroup_id_y 1
		.amdhsa_system_sgpr_workgroup_id_z 0
		.amdhsa_system_sgpr_workgroup_info 0
		.amdhsa_system_vgpr_workitem_id 0
		.amdhsa_next_free_vgpr 4
		.amdhsa_next_free_sgpr 8
		.amdhsa_accum_offset 4
		.amdhsa_reserve_vcc 1
		.amdhsa_reserve_flat_scratch 0
		.amdhsa_float_round_mode_32 0
		.amdhsa_float_round_mode_16_64 0
		.amdhsa_float_denorm_mode_32 3
		.amdhsa_float_denorm_mode_16_64 3
		.amdhsa_dx10_clamp 1
		.amdhsa_ieee_mode 1
		.amdhsa_fp16_overflow 0
		.amdhsa_tg_split 0
		.amdhsa_exception_fp_ieee_invalid_op 0
		.amdhsa_exception_fp_denorm_src 0
		.amdhsa_exception_fp_ieee_div_zero 0
		.amdhsa_exception_fp_ieee_overflow 0
		.amdhsa_exception_fp_ieee_underflow 0
		.amdhsa_exception_fp_ieee_inexact 0
		.amdhsa_exception_int_div_zero 0
	.end_amdhsa_kernel
	.section	.text._ZN9rocsolver6v33100L6restauI19rocblas_complex_numIfEEEviPT_l,"axG",@progbits,_ZN9rocsolver6v33100L6restauI19rocblas_complex_numIfEEEviPT_l,comdat
.Lfunc_end39:
	.size	_ZN9rocsolver6v33100L6restauI19rocblas_complex_numIfEEEviPT_l, .Lfunc_end39-_ZN9rocsolver6v33100L6restauI19rocblas_complex_numIfEEEviPT_l
                                        ; -- End function
	.section	.AMDGPU.csdata,"",@progbits
; Kernel info:
; codeLenInByte = 144
; NumSgprs: 12
; NumVgprs: 4
; NumAgprs: 0
; TotalNumVgprs: 4
; ScratchSize: 0
; MemoryBound: 0
; FloatMode: 240
; IeeeMode: 1
; LDSByteSize: 0 bytes/workgroup (compile time only)
; SGPRBlocks: 1
; VGPRBlocks: 0
; NumSGPRsForWavesPerEU: 12
; NumVGPRsForWavesPerEU: 4
; AccumOffset: 4
; Occupancy: 8
; WaveLimiterHint : 0
; COMPUTE_PGM_RSRC2:SCRATCH_EN: 0
; COMPUTE_PGM_RSRC2:USER_SGPR: 6
; COMPUTE_PGM_RSRC2:TRAP_HANDLER: 0
; COMPUTE_PGM_RSRC2:TGID_X_EN: 1
; COMPUTE_PGM_RSRC2:TGID_Y_EN: 1
; COMPUTE_PGM_RSRC2:TGID_Z_EN: 0
; COMPUTE_PGM_RSRC2:TIDIG_COMP_CNT: 0
; COMPUTE_PGM_RSRC3_GFX90A:ACCUM_OFFSET: 0
; COMPUTE_PGM_RSRC3_GFX90A:TG_SPLIT: 0
	.section	.text._ZN9rocsolver6v33100L8set_zeroI19rocblas_complex_numIfEPS3_EEviiT0_iil13rocblas_fill_,"axG",@progbits,_ZN9rocsolver6v33100L8set_zeroI19rocblas_complex_numIfEPS3_EEviiT0_iil13rocblas_fill_,comdat
	.globl	_ZN9rocsolver6v33100L8set_zeroI19rocblas_complex_numIfEPS3_EEviiT0_iil13rocblas_fill_ ; -- Begin function _ZN9rocsolver6v33100L8set_zeroI19rocblas_complex_numIfEPS3_EEviiT0_iil13rocblas_fill_
	.p2align	8
	.type	_ZN9rocsolver6v33100L8set_zeroI19rocblas_complex_numIfEPS3_EEviiT0_iil13rocblas_fill_,@function
_ZN9rocsolver6v33100L8set_zeroI19rocblas_complex_numIfEPS3_EEviiT0_iil13rocblas_fill_: ; @_ZN9rocsolver6v33100L8set_zeroI19rocblas_complex_numIfEPS3_EEviiT0_iil13rocblas_fill_
; %bb.0:
	s_load_dword s2, s[4:5], 0x34
	s_load_dwordx2 s[0:1], s[4:5], 0x0
	v_and_b32_e32 v1, 0x3ff, v0
	v_bfe_u32 v0, v0, 10, 10
	s_waitcnt lgkmcnt(0)
	s_lshr_b32 s3, s2, 16
	s_and_b32 s2, s2, 0xffff
	s_mul_i32 s6, s6, s2
	s_mul_i32 s7, s7, s3
	v_add_u32_e32 v2, s6, v1
	v_add_u32_e32 v0, s7, v0
	v_cmp_gt_u32_e32 vcc, s0, v2
	v_cmp_gt_u32_e64 s[0:1], s1, v0
	s_and_b64 s[0:1], vcc, s[0:1]
	s_and_saveexec_b64 s[2:3], s[0:1]
	s_cbranch_execz .LBB40_12
; %bb.1:
	s_load_dword s6, s[4:5], 0x20
	s_waitcnt lgkmcnt(0)
	s_cmpk_lt_i32 s6, 0x7a
	s_cbranch_scc1 .LBB40_4
; %bb.2:
	s_cmpk_gt_i32 s6, 0x7a
	s_cbranch_scc0 .LBB40_5
; %bb.3:
	s_cmpk_eq_i32 s6, 0x7b
	s_cselect_b64 s[0:1], -1, 0
	s_cbranch_execz .LBB40_6
	s_branch .LBB40_7
.LBB40_4:
	s_mov_b64 s[0:1], 0
	s_cbranch_execnz .LBB40_8
	s_branch .LBB40_10
.LBB40_5:
	s_mov_b64 s[0:1], 0
.LBB40_6:
	v_cmp_gt_u32_e32 vcc, v0, v2
	s_andn2_b64 s[0:1], s[0:1], exec
	s_and_b64 s[2:3], vcc, exec
	s_or_b64 s[0:1], s[0:1], s[2:3]
.LBB40_7:
	s_branch .LBB40_10
.LBB40_8:
	s_cmpk_eq_i32 s6, 0x79
	s_cbranch_scc0 .LBB40_10
; %bb.9:
	v_cmp_gt_u32_e32 vcc, v2, v0
	s_andn2_b64 s[0:1], s[0:1], exec
	s_and_b64 s[2:3], vcc, exec
	s_or_b64 s[0:1], s[0:1], s[2:3]
.LBB40_10:
	s_and_b64 exec, exec, s[0:1]
	s_cbranch_execz .LBB40_12
; %bb.11:
	s_load_dwordx4 s[0:3], s[4:5], 0x8
	s_load_dwordx2 s[6:7], s[4:5], 0x18
	s_waitcnt lgkmcnt(0)
	s_ashr_i32 s5, s2, 31
	s_mov_b32 s4, s2
	s_mul_i32 s2, s8, s7
	s_mul_hi_u32 s7, s8, s6
	s_add_i32 s7, s7, s2
	s_mul_i32 s6, s8, s6
	s_lshl_b64 s[6:7], s[6:7], 3
	s_add_u32 s2, s0, s6
	s_addc_u32 s6, s1, s7
	s_lshl_b64 s[0:1], s[4:5], 3
	s_add_u32 s2, s2, s0
	s_addc_u32 s4, s6, s1
	v_mad_u64_u32 v[0:1], s[0:1], v0, s3, v[2:3]
	v_mov_b32_e32 v1, 0
	v_lshlrev_b64 v[2:3], 3, v[0:1]
	v_mov_b32_e32 v0, s4
	v_add_co_u32_e32 v2, vcc, s2, v2
	v_addc_co_u32_e32 v3, vcc, v0, v3, vcc
	v_mov_b32_e32 v0, v1
	global_store_dwordx2 v[2:3], v[0:1], off
.LBB40_12:
	s_endpgm
	.section	.rodata,"a",@progbits
	.p2align	6, 0x0
	.amdhsa_kernel _ZN9rocsolver6v33100L8set_zeroI19rocblas_complex_numIfEPS3_EEviiT0_iil13rocblas_fill_
		.amdhsa_group_segment_fixed_size 0
		.amdhsa_private_segment_fixed_size 0
		.amdhsa_kernarg_size 296
		.amdhsa_user_sgpr_count 6
		.amdhsa_user_sgpr_private_segment_buffer 1
		.amdhsa_user_sgpr_dispatch_ptr 0
		.amdhsa_user_sgpr_queue_ptr 0
		.amdhsa_user_sgpr_kernarg_segment_ptr 1
		.amdhsa_user_sgpr_dispatch_id 0
		.amdhsa_user_sgpr_flat_scratch_init 0
		.amdhsa_user_sgpr_kernarg_preload_length 0
		.amdhsa_user_sgpr_kernarg_preload_offset 0
		.amdhsa_user_sgpr_private_segment_size 0
		.amdhsa_uses_dynamic_stack 0
		.amdhsa_system_sgpr_private_segment_wavefront_offset 0
		.amdhsa_system_sgpr_workgroup_id_x 1
		.amdhsa_system_sgpr_workgroup_id_y 1
		.amdhsa_system_sgpr_workgroup_id_z 1
		.amdhsa_system_sgpr_workgroup_info 0
		.amdhsa_system_vgpr_workitem_id 1
		.amdhsa_next_free_vgpr 4
		.amdhsa_next_free_sgpr 9
		.amdhsa_accum_offset 4
		.amdhsa_reserve_vcc 1
		.amdhsa_reserve_flat_scratch 0
		.amdhsa_float_round_mode_32 0
		.amdhsa_float_round_mode_16_64 0
		.amdhsa_float_denorm_mode_32 3
		.amdhsa_float_denorm_mode_16_64 3
		.amdhsa_dx10_clamp 1
		.amdhsa_ieee_mode 1
		.amdhsa_fp16_overflow 0
		.amdhsa_tg_split 0
		.amdhsa_exception_fp_ieee_invalid_op 0
		.amdhsa_exception_fp_denorm_src 0
		.amdhsa_exception_fp_ieee_div_zero 0
		.amdhsa_exception_fp_ieee_overflow 0
		.amdhsa_exception_fp_ieee_underflow 0
		.amdhsa_exception_fp_ieee_inexact 0
		.amdhsa_exception_int_div_zero 0
	.end_amdhsa_kernel
	.section	.text._ZN9rocsolver6v33100L8set_zeroI19rocblas_complex_numIfEPS3_EEviiT0_iil13rocblas_fill_,"axG",@progbits,_ZN9rocsolver6v33100L8set_zeroI19rocblas_complex_numIfEPS3_EEviiT0_iil13rocblas_fill_,comdat
.Lfunc_end40:
	.size	_ZN9rocsolver6v33100L8set_zeroI19rocblas_complex_numIfEPS3_EEviiT0_iil13rocblas_fill_, .Lfunc_end40-_ZN9rocsolver6v33100L8set_zeroI19rocblas_complex_numIfEPS3_EEviiT0_iil13rocblas_fill_
                                        ; -- End function
	.section	.AMDGPU.csdata,"",@progbits
; Kernel info:
; codeLenInByte = 316
; NumSgprs: 13
; NumVgprs: 4
; NumAgprs: 0
; TotalNumVgprs: 4
; ScratchSize: 0
; MemoryBound: 0
; FloatMode: 240
; IeeeMode: 1
; LDSByteSize: 0 bytes/workgroup (compile time only)
; SGPRBlocks: 1
; VGPRBlocks: 0
; NumSGPRsForWavesPerEU: 13
; NumVGPRsForWavesPerEU: 4
; AccumOffset: 4
; Occupancy: 8
; WaveLimiterHint : 0
; COMPUTE_PGM_RSRC2:SCRATCH_EN: 0
; COMPUTE_PGM_RSRC2:USER_SGPR: 6
; COMPUTE_PGM_RSRC2:TRAP_HANDLER: 0
; COMPUTE_PGM_RSRC2:TGID_X_EN: 1
; COMPUTE_PGM_RSRC2:TGID_Y_EN: 1
; COMPUTE_PGM_RSRC2:TGID_Z_EN: 1
; COMPUTE_PGM_RSRC2:TIDIG_COMP_CNT: 1
; COMPUTE_PGM_RSRC3_GFX90A:ACCUM_OFFSET: 0
; COMPUTE_PGM_RSRC3_GFX90A:TG_SPLIT: 0
	.section	.text._ZN9rocsolver6v33100L14set_triangularI19rocblas_complex_numIfEPS3_TnNSt9enable_ifIX18rocblas_is_complexIT_EEiE4typeELi0EEEviiT0_iilPS6_lSA_il15rocblas_direct_15rocblas_storev_b,"axG",@progbits,_ZN9rocsolver6v33100L14set_triangularI19rocblas_complex_numIfEPS3_TnNSt9enable_ifIX18rocblas_is_complexIT_EEiE4typeELi0EEEviiT0_iilPS6_lSA_il15rocblas_direct_15rocblas_storev_b,comdat
	.globl	_ZN9rocsolver6v33100L14set_triangularI19rocblas_complex_numIfEPS3_TnNSt9enable_ifIX18rocblas_is_complexIT_EEiE4typeELi0EEEviiT0_iilPS6_lSA_il15rocblas_direct_15rocblas_storev_b ; -- Begin function _ZN9rocsolver6v33100L14set_triangularI19rocblas_complex_numIfEPS3_TnNSt9enable_ifIX18rocblas_is_complexIT_EEiE4typeELi0EEEviiT0_iilPS6_lSA_il15rocblas_direct_15rocblas_storev_b
	.p2align	8
	.type	_ZN9rocsolver6v33100L14set_triangularI19rocblas_complex_numIfEPS3_TnNSt9enable_ifIX18rocblas_is_complexIT_EEiE4typeELi0EEEviiT0_iilPS6_lSA_il15rocblas_direct_15rocblas_storev_b,@function
_ZN9rocsolver6v33100L14set_triangularI19rocblas_complex_numIfEPS3_TnNSt9enable_ifIX18rocblas_is_complexIT_EEiE4typeELi0EEEviiT0_iilPS6_lSA_il15rocblas_direct_15rocblas_storev_b: ; @_ZN9rocsolver6v33100L14set_triangularI19rocblas_complex_numIfEPS3_TnNSt9enable_ifIX18rocblas_is_complexIT_EEiE4typeELi0EEEviiT0_iilPS6_lSA_il15rocblas_direct_15rocblas_storev_b
; %bb.0:
	s_load_dword s0, s[4:5], 0x64
	s_load_dwordx2 s[20:21], s[4:5], 0x0
	v_and_b32_e32 v1, 0x3ff, v0
	v_bfe_u32 v0, v0, 10, 10
	s_waitcnt lgkmcnt(0)
	s_lshr_b32 s1, s0, 16
	s_and_b32 s0, s0, 0xffff
	s_mul_i32 s6, s6, s0
	s_mul_i32 s7, s7, s1
	v_add_u32_e32 v2, s6, v1
	v_add_u32_e32 v0, s7, v0
	v_max_u32_e32 v1, v2, v0
	v_cmp_gt_u32_e32 vcc, s21, v1
	s_and_saveexec_b64 s[0:1], vcc
	s_cbranch_execz .LBB41_36
; %bb.1:
	s_load_dwordx8 s[12:19], s[4:5], 0x18
	s_load_dword s22, s[4:5], 0x38
	s_load_dwordx2 s[0:1], s[4:5], 0x40
	v_cmp_ne_u32_e32 vcc, v0, v2
	s_waitcnt lgkmcnt(0)
	s_mul_i32 s3, s8, s17
	s_mul_hi_u32 s6, s8, s16
	s_mul_i32 s2, s8, s16
	s_add_i32 s3, s6, s3
	s_lshl_b64 s[2:3], s[2:3], 3
	s_add_u32 s16, s14, s2
	s_mul_i32 s1, s8, s1
	s_mul_hi_u32 s2, s8, s0
	s_addc_u32 s17, s15, s3
	s_add_i32 s1, s2, s1
	s_mul_i32 s0, s8, s0
	s_lshl_b64 s[0:1], s[0:1], 3
	s_add_u32 s14, s18, s0
	s_addc_u32 s15, s19, s1
	s_and_saveexec_b64 s[0:1], vcc
	s_xor_b64 s[10:11], exec, s[0:1]
	s_cbranch_execz .LBB41_34
; %bb.2:
	s_load_dwordx4 s[0:3], s[4:5], 0x8
	s_mul_i32 s9, s8, s13
	s_mul_hi_u32 s13, s8, s12
	s_add_i32 s9, s13, s9
	s_mul_i32 s8, s8, s12
	s_load_dwordx4 s[4:7], s[4:5], 0x48
	s_waitcnt lgkmcnt(0)
	s_ashr_i32 s19, s2, 31
	s_lshl_b64 s[8:9], s[8:9], 3
	s_mov_b32 s18, s2
	s_add_u32 s2, s0, s8
	s_addc_u32 s7, s1, s9
	s_lshl_b64 s[0:1], s[18:19], 3
	s_add_u32 s2, s2, s0
	s_addc_u32 s12, s7, s1
	s_bitcmp1_b32 s6, 0
	s_cselect_b64 s[0:1], -1, 0
	s_xor_b64 s[0:1], s[0:1], -1
	s_mov_b64 s[6:7], -1
	s_cmpk_lg_i32 s4, 0xab
	v_mov_b32_e32 v3, 0
	s_cbranch_scc0 .LBB41_18
; %bb.3:
	v_cmp_le_u32_e32 vcc, v0, v2
	s_and_saveexec_b64 s[6:7], vcc
	s_xor_b64 s[6:7], exec, s[6:7]
	s_cbranch_execz .LBB41_5
; %bb.4:
	v_mad_u64_u32 v[4:5], s[8:9], v2, s22, 0
	s_ashr_i32 s4, s22, 31
	v_mov_b32_e32 v6, v5
	v_mad_u64_u32 v[6:7], s[8:9], v2, s4, v[6:7]
	v_mov_b32_e32 v5, v6
	v_lshlrev_b64 v[4:5], 3, v[4:5]
	v_mov_b32_e32 v1, 0
	v_mov_b32_e32 v6, s15
	v_add_co_u32_e32 v7, vcc, s14, v4
	v_addc_co_u32_e32 v6, vcc, v6, v5, vcc
	v_lshlrev_b64 v[4:5], 3, v[0:1]
	v_add_co_u32_e32 v4, vcc, v7, v4
	v_addc_co_u32_e32 v5, vcc, v6, v5, vcc
	v_mov_b32_e32 v6, v1
	v_mov_b32_e32 v7, v1
	global_store_dwordx2 v[4:5], v[6:7], off
.LBB41_5:
	s_andn2_saveexec_b64 s[6:7], s[6:7]
	s_cbranch_execz .LBB41_17
; %bb.6:
	v_lshlrev_b64 v[4:5], 3, v[2:3]
	v_mov_b32_e32 v1, s17
	v_add_co_u32_e32 v4, vcc, s16, v4
	v_addc_co_u32_e32 v5, vcc, v1, v5, vcc
	global_load_dwordx2 v[4:5], v[4:5], off
	s_cmpk_lg_i32 s5, 0xb5
	s_mov_b64 s[8:9], -1
	s_cbranch_scc0 .LBB41_12
; %bb.7:
	v_mov_b32_e32 v1, 0
	s_andn2_b64 vcc, exec, s[0:1]
	v_lshlrev_b64 v[6:7], 3, v[0:1]
	s_cbranch_vccnz .LBB41_9
; %bb.8:
	s_sub_i32 s4, s20, s21
	v_add_u32_e32 v1, s4, v2
	v_mad_u64_u32 v[8:9], s[8:9], v1, s3, 0
	s_ashr_i32 s4, s3, 31
	v_mov_b32_e32 v10, v9
	v_mad_u64_u32 v[10:11], s[8:9], v1, s4, v[10:11]
	v_mov_b32_e32 v9, v10
	v_lshlrev_b64 v[8:9], 3, v[8:9]
	v_mov_b32_e32 v1, s12
	v_add_co_u32_e32 v8, vcc, s2, v8
	v_addc_co_u32_e32 v1, vcc, v1, v9, vcc
	v_add_co_u32_e32 v8, vcc, v8, v6
	v_addc_co_u32_e32 v9, vcc, v1, v7, vcc
	global_load_dwordx2 v[8:9], v[8:9], off
	v_mad_u64_u32 v[10:11], s[8:9], v2, s22, 0
	s_ashr_i32 s4, s22, 31
	v_mov_b32_e32 v14, v11
	v_mad_u64_u32 v[14:15], s[8:9], v2, s4, v[14:15]
	v_mov_b32_e32 v11, v14
	v_lshlrev_b64 v[10:11], 3, v[10:11]
	v_mov_b32_e32 v1, s15
	v_add_co_u32_e32 v10, vcc, s14, v10
	s_waitcnt vmcnt(1)
	v_mov_b32_e32 v12, v5
	v_addc_co_u32_e32 v1, vcc, v1, v11, vcc
	v_add_co_u32_e32 v10, vcc, v10, v6
	v_addc_co_u32_e32 v11, vcc, v1, v7, vcc
	s_mov_b64 s[8:9], 0
	s_waitcnt vmcnt(0)
	v_pk_mul_f32 v[12:13], v[12:13], v[8:9] op_sel_hi:[0,1] neg_lo:[1,0]
	v_pk_fma_f32 v[8:9], v[4:5], v[8:9], v[12:13] op_sel:[0,0,1] op_sel_hi:[0,1,0] neg_lo:[1,0,0] neg_hi:[1,0,0]
	global_store_dwordx2 v[10:11], v[8:9], off
.LBB41_9:
	s_andn2_b64 vcc, exec, s[8:9]
	s_cbranch_vccnz .LBB41_11
; %bb.10:
	v_mad_u64_u32 v[8:9], s[8:9], v2, s22, 0
	s_ashr_i32 s4, s22, 31
	v_mov_b32_e32 v10, v9
	v_mad_u64_u32 v[10:11], s[8:9], v2, s4, v[10:11]
	v_mov_b32_e32 v9, v10
	v_lshlrev_b64 v[8:9], 3, v[8:9]
	v_mov_b32_e32 v1, s15
	v_add_co_u32_e32 v8, vcc, s14, v8
	v_addc_co_u32_e32 v1, vcc, v1, v9, vcc
	v_add_co_u32_e32 v8, vcc, v8, v6
	s_sub_i32 s4, s20, s21
	v_addc_co_u32_e32 v9, vcc, v1, v7, vcc
	v_add_u32_e32 v1, s4, v2
	v_mad_u64_u32 v[10:11], s[8:9], v1, s3, 0
	s_ashr_i32 s4, s3, 31
	v_mov_b32_e32 v12, v11
	v_mad_u64_u32 v[12:13], s[8:9], v1, s4, v[12:13]
	v_mov_b32_e32 v11, v12
	v_lshlrev_b64 v[10:11], 3, v[10:11]
	v_mov_b32_e32 v1, s12
	v_add_co_u32_e32 v10, vcc, s2, v10
	v_addc_co_u32_e32 v1, vcc, v1, v11, vcc
	v_add_co_u32_e32 v6, vcc, v10, v6
	v_addc_co_u32_e32 v7, vcc, v1, v7, vcc
	global_load_dwordx2 v[10:11], v[8:9], off
	global_load_dwordx2 v[12:13], v[6:7], off
	s_waitcnt vmcnt(2)
	v_mov_b32_e32 v6, v5
	s_waitcnt vmcnt(0)
	v_pk_add_f32 v[10:11], v[12:13], v[10:11]
	v_pk_mul_f32 v[12:13], v[4:5], v[10:11] op_sel_hi:[0,1]
	v_pk_fma_f32 v[6:7], v[6:7], v[10:11], v[12:13] op_sel:[0,0,1] op_sel_hi:[0,1,0] neg_lo:[1,0,1] neg_hi:[0,0,1]
	v_mov_b32_e32 v10, v7
	v_mov_b32_e32 v11, v6
	global_store_dwordx2 v[8:9], v[10:11], off
.LBB41_11:
	s_mov_b64 s[8:9], 0
.LBB41_12:
	s_andn2_b64 vcc, exec, s[8:9]
	s_cbranch_vccnz .LBB41_17
; %bb.13:
	s_andn2_b64 vcc, exec, s[0:1]
	s_mov_b64 s[8:9], -1
	s_cbranch_vccnz .LBB41_15
; %bb.14:
	s_sub_i32 s4, s20, s21
	v_mad_u64_u32 v[8:9], s[8:9], v0, s3, 0
	v_add_u32_e32 v6, s4, v2
	s_ashr_i32 s4, s3, 31
	v_mov_b32_e32 v10, v9
	v_mad_u64_u32 v[10:11], s[8:9], v0, s4, v[10:11]
	v_mov_b32_e32 v9, v10
	v_lshlrev_b64 v[8:9], 3, v[8:9]
	v_mov_b32_e32 v7, 0
	v_mov_b32_e32 v1, s12
	v_add_co_u32_e32 v10, vcc, s2, v8
	v_addc_co_u32_e32 v1, vcc, v1, v9, vcc
	v_lshlrev_b64 v[8:9], 3, v[6:7]
	v_add_co_u32_e32 v8, vcc, v10, v8
	v_addc_co_u32_e32 v9, vcc, v1, v9, vcc
	global_load_dwordx2 v[8:9], v[8:9], off
	v_mad_u64_u32 v[10:11], s[8:9], v2, s22, 0
	s_ashr_i32 s4, s22, 31
	v_mov_b32_e32 v12, v11
	v_mad_u64_u32 v[12:13], s[8:9], v2, s4, v[12:13]
	v_mov_b32_e32 v11, v12
	v_mov_b32_e32 v1, v7
	v_lshlrev_b64 v[10:11], 3, v[10:11]
	v_mov_b32_e32 v16, s15
	v_lshlrev_b64 v[14:15], 3, v[0:1]
	v_add_co_u32_e32 v1, vcc, s14, v10
	v_addc_co_u32_e32 v7, vcc, v16, v11, vcc
	s_waitcnt vmcnt(1)
	v_mov_b32_e32 v6, v5
	v_add_co_u32_e32 v10, vcc, v1, v14
	v_addc_co_u32_e32 v11, vcc, v7, v15, vcc
	s_mov_b64 s[8:9], 0
	s_waitcnt vmcnt(0)
	v_pk_mul_f32 v[6:7], v[6:7], v[8:9] op_sel_hi:[0,1]
	v_pk_fma_f32 v[6:7], v[8:9], v[4:5], v[6:7] op_sel:[0,0,1] op_sel_hi:[1,0,0] neg_lo:[0,1,1] neg_hi:[0,0,1]
	global_store_dwordx2 v[10:11], v[6:7], off
.LBB41_15:
	s_andn2_b64 vcc, exec, s[8:9]
	s_cbranch_vccnz .LBB41_17
; %bb.16:
	v_mad_u64_u32 v[6:7], s[8:9], v2, s22, 0
	s_ashr_i32 s4, s22, 31
	v_mov_b32_e32 v8, v7
	v_mad_u64_u32 v[8:9], s[8:9], v2, s4, v[8:9]
	v_mov_b32_e32 v7, v8
	v_lshlrev_b64 v[6:7], 3, v[6:7]
	v_mov_b32_e32 v1, 0
	v_mov_b32_e32 v8, s15
	v_add_co_u32_e32 v9, vcc, s14, v6
	v_addc_co_u32_e32 v8, vcc, v8, v7, vcc
	v_lshlrev_b64 v[6:7], 3, v[0:1]
	v_add_co_u32_e32 v6, vcc, v9, v6
	s_sub_i32 s4, s20, s21
	v_mad_u64_u32 v[10:11], s[8:9], v0, s3, 0
	v_addc_co_u32_e32 v7, vcc, v8, v7, vcc
	v_add_u32_e32 v8, s4, v2
	s_ashr_i32 s4, s3, 31
	v_mov_b32_e32 v12, v11
	v_mad_u64_u32 v[12:13], s[8:9], v0, s4, v[12:13]
	v_mov_b32_e32 v11, v12
	v_lshlrev_b64 v[10:11], 3, v[10:11]
	v_mov_b32_e32 v9, v1
	v_mov_b32_e32 v1, s12
	v_add_co_u32_e32 v10, vcc, s2, v10
	v_addc_co_u32_e32 v1, vcc, v1, v11, vcc
	v_lshlrev_b64 v[8:9], 3, v[8:9]
	v_add_co_u32_e32 v8, vcc, v10, v8
	v_addc_co_u32_e32 v9, vcc, v1, v9, vcc
	global_load_dwordx2 v[10:11], v[6:7], off
	global_load_dwordx2 v[12:13], v[8:9], off
	s_waitcnt vmcnt(2)
	v_mov_b32_e32 v8, v5
	s_waitcnt vmcnt(0)
	v_pk_add_f32 v[14:15], v[10:11], v[12:13] op_sel:[1,1] op_sel_hi:[0,0] neg_lo:[0,1] neg_hi:[0,1]
	v_pk_add_f32 v[10:11], v[12:13], v[10:11] op_sel:[1,1] op_sel_hi:[0,0]
	v_mov_b32_e32 v15, v11
	v_mov_b32_e32 v10, v11
	v_mov_b32_e32 v11, v14
	v_pk_mul_f32 v[4:5], v[4:5], v[10:11] op_sel_hi:[0,1]
	v_pk_fma_f32 v[4:5], v[8:9], v[14:15], v[4:5] op_sel_hi:[0,1,1] neg_lo:[0,0,1] neg_hi:[1,0,1]
	global_store_dwordx2 v[6:7], v[4:5], off
.LBB41_17:
	s_or_b64 exec, exec, s[6:7]
	s_mov_b64 s[6:7], 0
.LBB41_18:
	s_andn2_b64 vcc, exec, s[6:7]
	s_cbranch_vccnz .LBB41_34
; %bb.19:
	v_cmp_ge_u32_e32 vcc, v0, v2
	s_and_saveexec_b64 s[6:7], vcc
	s_xor_b64 s[6:7], exec, s[6:7]
	s_cbranch_execz .LBB41_21
; %bb.20:
	s_waitcnt vmcnt(0)
	v_mad_u64_u32 v[4:5], s[8:9], v2, s22, 0
	s_ashr_i32 s4, s22, 31
	v_mov_b32_e32 v6, v5
	v_mad_u64_u32 v[2:3], s[8:9], v2, s4, v[6:7]
	v_mov_b32_e32 v5, v2
	v_lshlrev_b64 v[2:3], 3, v[4:5]
	v_mov_b32_e32 v1, 0
	v_mov_b32_e32 v4, s15
	v_add_co_u32_e32 v5, vcc, s14, v2
	v_addc_co_u32_e32 v4, vcc, v4, v3, vcc
	v_lshlrev_b64 v[2:3], 3, v[0:1]
	v_add_co_u32_e32 v2, vcc, v5, v2
	v_addc_co_u32_e32 v3, vcc, v4, v3, vcc
	v_mov_b32_e32 v0, v1
	global_store_dwordx2 v[2:3], v[0:1], off
                                        ; implicit-def: $vgpr2_vgpr3
                                        ; implicit-def: $vgpr0
.LBB41_21:
	s_andn2_saveexec_b64 s[6:7], s[6:7]
	s_cbranch_execz .LBB41_33
; %bb.22:
	v_lshlrev_b64 v[6:7], 3, v[2:3]
	v_mov_b32_e32 v1, s17
	s_waitcnt vmcnt(0)
	v_add_co_u32_e32 v4, vcc, s16, v6
	v_addc_co_u32_e32 v5, vcc, v1, v7, vcc
	global_load_dwordx2 v[4:5], v[4:5], off
	v_cndmask_b32_e64 v1, 0, 1, s[0:1]
	s_cmpk_lg_i32 s5, 0xb5
	s_mov_b64 s[4:5], -1
	v_cmp_ne_u32_e64 s[0:1], 1, v1
	s_cbranch_scc0 .LBB41_28
; %bb.23:
	v_mov_b32_e32 v1, 0
	s_and_b64 vcc, exec, s[0:1]
	v_lshlrev_b64 v[8:9], 3, v[0:1]
	s_cbranch_vccnz .LBB41_25
; %bb.24:
	v_mad_u64_u32 v[10:11], s[4:5], v2, s3, 0
	s_ashr_i32 s8, s3, 31
	v_mov_b32_e32 v12, v11
	v_mad_u64_u32 v[12:13], s[4:5], v2, s8, v[12:13]
	v_mov_b32_e32 v11, v12
	v_lshlrev_b64 v[10:11], 3, v[10:11]
	v_mov_b32_e32 v1, s12
	v_add_co_u32_e32 v3, vcc, s2, v10
	v_addc_co_u32_e32 v1, vcc, v1, v11, vcc
	v_add_co_u32_e32 v10, vcc, v3, v8
	v_addc_co_u32_e32 v11, vcc, v1, v9, vcc
	global_load_dwordx2 v[10:11], v[10:11], off
	v_mad_u64_u32 v[12:13], s[4:5], v2, s22, 0
	s_ashr_i32 s8, s22, 31
	v_mov_b32_e32 v16, v13
	v_mad_u64_u32 v[16:17], s[4:5], v2, s8, v[16:17]
	v_mov_b32_e32 v13, v16
	v_lshlrev_b64 v[12:13], 3, v[12:13]
	v_mov_b32_e32 v1, s15
	v_add_co_u32_e32 v3, vcc, s14, v12
	s_waitcnt vmcnt(1)
	v_mov_b32_e32 v14, v5
	v_addc_co_u32_e32 v1, vcc, v1, v13, vcc
	v_add_co_u32_e32 v12, vcc, v3, v8
	v_addc_co_u32_e32 v13, vcc, v1, v9, vcc
	s_mov_b64 s[4:5], 0
	s_waitcnt vmcnt(0)
	v_pk_mul_f32 v[14:15], v[14:15], v[10:11] op_sel_hi:[0,1] neg_lo:[1,0]
	v_pk_fma_f32 v[10:11], v[4:5], v[10:11], v[14:15] op_sel:[0,0,1] op_sel_hi:[0,1,0] neg_lo:[1,0,0] neg_hi:[1,0,0]
	global_store_dwordx2 v[12:13], v[10:11], off
.LBB41_25:
	s_andn2_b64 vcc, exec, s[4:5]
	s_cbranch_vccnz .LBB41_27
; %bb.26:
	v_mad_u64_u32 v[10:11], s[4:5], v2, s22, 0
	s_ashr_i32 s8, s22, 31
	v_mov_b32_e32 v12, v11
	v_mad_u64_u32 v[12:13], s[4:5], v2, s8, v[12:13]
	v_mov_b32_e32 v11, v12
	v_lshlrev_b64 v[10:11], 3, v[10:11]
	v_mad_u64_u32 v[12:13], s[4:5], v2, s3, 0
	v_mov_b32_e32 v1, s15
	v_add_co_u32_e32 v3, vcc, s14, v10
	s_ashr_i32 s8, s3, 31
	v_mov_b32_e32 v14, v13
	v_addc_co_u32_e32 v1, vcc, v1, v11, vcc
	v_mad_u64_u32 v[14:15], s[4:5], v2, s8, v[14:15]
	v_add_co_u32_e32 v10, vcc, v3, v8
	v_mov_b32_e32 v13, v14
	v_addc_co_u32_e32 v11, vcc, v1, v9, vcc
	v_lshlrev_b64 v[12:13], 3, v[12:13]
	v_mov_b32_e32 v1, s12
	v_add_co_u32_e32 v3, vcc, s2, v12
	v_addc_co_u32_e32 v1, vcc, v1, v13, vcc
	v_add_co_u32_e32 v8, vcc, v3, v8
	v_addc_co_u32_e32 v9, vcc, v1, v9, vcc
	global_load_dwordx2 v[12:13], v[10:11], off
	global_load_dwordx2 v[14:15], v[8:9], off
	s_waitcnt vmcnt(2)
	v_mov_b32_e32 v8, v5
	s_waitcnt vmcnt(0)
	v_pk_add_f32 v[12:13], v[14:15], v[12:13]
	v_pk_mul_f32 v[14:15], v[4:5], v[12:13] op_sel_hi:[0,1]
	v_pk_fma_f32 v[8:9], v[8:9], v[12:13], v[14:15] op_sel:[0,0,1] op_sel_hi:[0,1,0] neg_lo:[1,0,1] neg_hi:[0,0,1]
	v_mov_b32_e32 v12, v9
	v_mov_b32_e32 v13, v8
	global_store_dwordx2 v[10:11], v[12:13], off
.LBB41_27:
	s_mov_b64 s[4:5], 0
.LBB41_28:
	s_andn2_b64 vcc, exec, s[4:5]
	s_cbranch_vccnz .LBB41_33
; %bb.29:
	v_mov_b32_e32 v1, 0
	s_mov_b64 s[4:5], -1
	s_and_b64 vcc, exec, s[0:1]
	v_lshlrev_b64 v[8:9], 3, v[0:1]
	s_cbranch_vccnz .LBB41_31
; %bb.30:
	v_mad_u64_u32 v[10:11], s[0:1], v0, s3, 0
	s_ashr_i32 s4, s3, 31
	v_mov_b32_e32 v12, v11
	v_mad_u64_u32 v[12:13], s[0:1], v0, s4, v[12:13]
	v_mov_b32_e32 v11, v12
	v_lshlrev_b64 v[10:11], 3, v[10:11]
	v_mov_b32_e32 v1, s12
	v_add_co_u32_e32 v3, vcc, s2, v10
	v_addc_co_u32_e32 v1, vcc, v1, v11, vcc
	v_add_co_u32_e32 v10, vcc, v3, v6
	v_addc_co_u32_e32 v11, vcc, v1, v7, vcc
	global_load_dwordx2 v[10:11], v[10:11], off
	v_mad_u64_u32 v[12:13], s[0:1], v2, s22, 0
	s_ashr_i32 s4, s22, 31
	v_mov_b32_e32 v16, v13
	v_mad_u64_u32 v[16:17], s[0:1], v2, s4, v[16:17]
	v_mov_b32_e32 v13, v16
	v_lshlrev_b64 v[12:13], 3, v[12:13]
	v_mov_b32_e32 v1, s15
	v_add_co_u32_e32 v3, vcc, s14, v12
	s_waitcnt vmcnt(1)
	v_mov_b32_e32 v14, v5
	v_addc_co_u32_e32 v1, vcc, v1, v13, vcc
	v_add_co_u32_e32 v12, vcc, v3, v8
	v_addc_co_u32_e32 v13, vcc, v1, v9, vcc
	s_mov_b64 s[4:5], 0
	s_waitcnt vmcnt(0)
	v_pk_mul_f32 v[14:15], v[14:15], v[10:11] op_sel_hi:[0,1]
	v_pk_fma_f32 v[10:11], v[10:11], v[4:5], v[14:15] op_sel:[0,0,1] op_sel_hi:[1,0,0] neg_lo:[0,1,1] neg_hi:[0,0,1]
	global_store_dwordx2 v[12:13], v[10:11], off
.LBB41_31:
	s_andn2_b64 vcc, exec, s[4:5]
	s_cbranch_vccnz .LBB41_33
; %bb.32:
	v_mad_u64_u32 v[10:11], s[0:1], v2, s22, 0
	s_ashr_i32 s4, s22, 31
	v_mov_b32_e32 v12, v11
	v_mad_u64_u32 v[2:3], s[0:1], v2, s4, v[12:13]
	v_mov_b32_e32 v11, v2
	v_lshlrev_b64 v[2:3], 3, v[10:11]
	v_mov_b32_e32 v1, s15
	v_add_co_u32_e32 v2, vcc, s14, v2
	v_addc_co_u32_e32 v1, vcc, v1, v3, vcc
	v_add_co_u32_e32 v2, vcc, v2, v8
	v_addc_co_u32_e32 v3, vcc, v1, v9, vcc
	v_mad_u64_u32 v[8:9], s[0:1], v0, s3, 0
	s_ashr_i32 s4, s3, 31
	v_mov_b32_e32 v10, v9
	v_mad_u64_u32 v[0:1], s[0:1], v0, s4, v[10:11]
	v_mov_b32_e32 v9, v0
	v_lshlrev_b64 v[0:1], 3, v[8:9]
	v_mov_b32_e32 v8, s12
	v_add_co_u32_e32 v0, vcc, s2, v0
	v_addc_co_u32_e32 v1, vcc, v8, v1, vcc
	v_add_co_u32_e32 v0, vcc, v0, v6
	v_addc_co_u32_e32 v1, vcc, v1, v7, vcc
	global_load_dwordx2 v[6:7], v[2:3], off
	global_load_dwordx2 v[8:9], v[0:1], off
	s_waitcnt vmcnt(2)
	v_mov_b32_e32 v0, v5
	s_waitcnt vmcnt(0)
	v_pk_add_f32 v[10:11], v[6:7], v[8:9] op_sel:[1,1] op_sel_hi:[0,0] neg_lo:[0,1] neg_hi:[0,1]
	v_pk_add_f32 v[6:7], v[8:9], v[6:7] op_sel:[1,1] op_sel_hi:[0,0]
	v_mov_b32_e32 v11, v7
	v_mov_b32_e32 v6, v7
	;; [unrolled: 1-line block ×3, first 2 shown]
	v_pk_mul_f32 v[4:5], v[4:5], v[6:7] op_sel_hi:[0,1]
	v_pk_fma_f32 v[0:1], v[0:1], v[10:11], v[4:5] op_sel_hi:[0,1,1] neg_lo:[0,0,1] neg_hi:[1,0,1]
	global_store_dwordx2 v[2:3], v[0:1], off
.LBB41_33:
	s_or_b64 exec, exec, s[6:7]
                                        ; implicit-def: $vgpr2
.LBB41_34:
	s_andn2_saveexec_b64 s[0:1], s[10:11]
	s_cbranch_execz .LBB41_36
; %bb.35:
	v_mov_b32_e32 v3, 0
	v_lshlrev_b64 v[0:1], 3, v[2:3]
	v_mov_b32_e32 v3, s17
	s_waitcnt vmcnt(0)
	v_add_co_u32_e32 v4, vcc, s16, v0
	v_addc_co_u32_e32 v5, vcc, v3, v1, vcc
	global_load_dwordx2 v[4:5], v[4:5], off
	v_mad_u64_u32 v[6:7], s[0:1], v2, s22, 0
	s_ashr_i32 s2, s22, 31
	v_mov_b32_e32 v8, v7
	v_mad_u64_u32 v[2:3], s[0:1], v2, s2, v[8:9]
	v_mov_b32_e32 v7, v2
	v_lshlrev_b64 v[2:3], 3, v[6:7]
	v_mov_b32_e32 v6, s15
	v_add_co_u32_e32 v2, vcc, s14, v2
	v_addc_co_u32_e32 v3, vcc, v6, v3, vcc
	v_add_co_u32_e32 v0, vcc, v2, v0
	v_addc_co_u32_e32 v1, vcc, v3, v1, vcc
	s_waitcnt vmcnt(0)
	global_store_dwordx2 v[0:1], v[4:5], off
.LBB41_36:
	s_endpgm
	.section	.rodata,"a",@progbits
	.p2align	6, 0x0
	.amdhsa_kernel _ZN9rocsolver6v33100L14set_triangularI19rocblas_complex_numIfEPS3_TnNSt9enable_ifIX18rocblas_is_complexIT_EEiE4typeELi0EEEviiT0_iilPS6_lSA_il15rocblas_direct_15rocblas_storev_b
		.amdhsa_group_segment_fixed_size 0
		.amdhsa_private_segment_fixed_size 0
		.amdhsa_kernarg_size 344
		.amdhsa_user_sgpr_count 6
		.amdhsa_user_sgpr_private_segment_buffer 1
		.amdhsa_user_sgpr_dispatch_ptr 0
		.amdhsa_user_sgpr_queue_ptr 0
		.amdhsa_user_sgpr_kernarg_segment_ptr 1
		.amdhsa_user_sgpr_dispatch_id 0
		.amdhsa_user_sgpr_flat_scratch_init 0
		.amdhsa_user_sgpr_kernarg_preload_length 0
		.amdhsa_user_sgpr_kernarg_preload_offset 0
		.amdhsa_user_sgpr_private_segment_size 0
		.amdhsa_uses_dynamic_stack 0
		.amdhsa_system_sgpr_private_segment_wavefront_offset 0
		.amdhsa_system_sgpr_workgroup_id_x 1
		.amdhsa_system_sgpr_workgroup_id_y 1
		.amdhsa_system_sgpr_workgroup_id_z 1
		.amdhsa_system_sgpr_workgroup_info 0
		.amdhsa_system_vgpr_workitem_id 1
		.amdhsa_next_free_vgpr 18
		.amdhsa_next_free_sgpr 23
		.amdhsa_accum_offset 20
		.amdhsa_reserve_vcc 1
		.amdhsa_reserve_flat_scratch 0
		.amdhsa_float_round_mode_32 0
		.amdhsa_float_round_mode_16_64 0
		.amdhsa_float_denorm_mode_32 3
		.amdhsa_float_denorm_mode_16_64 3
		.amdhsa_dx10_clamp 1
		.amdhsa_ieee_mode 1
		.amdhsa_fp16_overflow 0
		.amdhsa_tg_split 0
		.amdhsa_exception_fp_ieee_invalid_op 0
		.amdhsa_exception_fp_denorm_src 0
		.amdhsa_exception_fp_ieee_div_zero 0
		.amdhsa_exception_fp_ieee_overflow 0
		.amdhsa_exception_fp_ieee_underflow 0
		.amdhsa_exception_fp_ieee_inexact 0
		.amdhsa_exception_int_div_zero 0
	.end_amdhsa_kernel
	.section	.text._ZN9rocsolver6v33100L14set_triangularI19rocblas_complex_numIfEPS3_TnNSt9enable_ifIX18rocblas_is_complexIT_EEiE4typeELi0EEEviiT0_iilPS6_lSA_il15rocblas_direct_15rocblas_storev_b,"axG",@progbits,_ZN9rocsolver6v33100L14set_triangularI19rocblas_complex_numIfEPS3_TnNSt9enable_ifIX18rocblas_is_complexIT_EEiE4typeELi0EEEviiT0_iilPS6_lSA_il15rocblas_direct_15rocblas_storev_b,comdat
.Lfunc_end41:
	.size	_ZN9rocsolver6v33100L14set_triangularI19rocblas_complex_numIfEPS3_TnNSt9enable_ifIX18rocblas_is_complexIT_EEiE4typeELi0EEEviiT0_iilPS6_lSA_il15rocblas_direct_15rocblas_storev_b, .Lfunc_end41-_ZN9rocsolver6v33100L14set_triangularI19rocblas_complex_numIfEPS3_TnNSt9enable_ifIX18rocblas_is_complexIT_EEiE4typeELi0EEEviiT0_iilPS6_lSA_il15rocblas_direct_15rocblas_storev_b
                                        ; -- End function
	.section	.AMDGPU.csdata,"",@progbits
; Kernel info:
; codeLenInByte = 2324
; NumSgprs: 27
; NumVgprs: 18
; NumAgprs: 0
; TotalNumVgprs: 18
; ScratchSize: 0
; MemoryBound: 0
; FloatMode: 240
; IeeeMode: 1
; LDSByteSize: 0 bytes/workgroup (compile time only)
; SGPRBlocks: 3
; VGPRBlocks: 2
; NumSGPRsForWavesPerEU: 27
; NumVGPRsForWavesPerEU: 18
; AccumOffset: 20
; Occupancy: 8
; WaveLimiterHint : 0
; COMPUTE_PGM_RSRC2:SCRATCH_EN: 0
; COMPUTE_PGM_RSRC2:USER_SGPR: 6
; COMPUTE_PGM_RSRC2:TRAP_HANDLER: 0
; COMPUTE_PGM_RSRC2:TGID_X_EN: 1
; COMPUTE_PGM_RSRC2:TGID_Y_EN: 1
; COMPUTE_PGM_RSRC2:TGID_Z_EN: 1
; COMPUTE_PGM_RSRC2:TIDIG_COMP_CNT: 1
; COMPUTE_PGM_RSRC3_GFX90A:ACCUM_OFFSET: 4
; COMPUTE_PGM_RSRC3_GFX90A:TG_SPLIT: 0
	.section	.text._ZN9rocsolver6v33100L7set_tauI19rocblas_complex_numIfEEEviPT_l,"axG",@progbits,_ZN9rocsolver6v33100L7set_tauI19rocblas_complex_numIfEEEviPT_l,comdat
	.globl	_ZN9rocsolver6v33100L7set_tauI19rocblas_complex_numIfEEEviPT_l ; -- Begin function _ZN9rocsolver6v33100L7set_tauI19rocblas_complex_numIfEEEviPT_l
	.p2align	8
	.type	_ZN9rocsolver6v33100L7set_tauI19rocblas_complex_numIfEEEviPT_l,@function
_ZN9rocsolver6v33100L7set_tauI19rocblas_complex_numIfEEEviPT_l: ; @_ZN9rocsolver6v33100L7set_tauI19rocblas_complex_numIfEEEviPT_l
; %bb.0:
	s_load_dword s0, s[4:5], 0x24
	s_load_dword s1, s[4:5], 0x0
	s_waitcnt lgkmcnt(0)
	s_and_b32 s0, s0, 0xffff
	s_mul_i32 s6, s6, s0
	v_add_u32_e32 v0, s6, v0
	v_cmp_gt_u32_e32 vcc, s1, v0
	s_and_saveexec_b64 s[0:1], vcc
	s_cbranch_execz .LBB42_2
; %bb.1:
	s_load_dwordx4 s[0:3], s[4:5], 0x8
	v_mov_b32_e32 v1, 0
	v_lshlrev_b64 v[0:1], 3, v[0:1]
	s_waitcnt lgkmcnt(0)
	s_mul_i32 s3, s7, s3
	s_mul_hi_u32 s4, s7, s2
	s_mul_i32 s2, s7, s2
	s_add_i32 s3, s4, s3
	s_lshl_b64 s[2:3], s[2:3], 3
	s_add_u32 s0, s0, s2
	s_addc_u32 s1, s1, s3
	v_mov_b32_e32 v2, s1
	v_add_co_u32_e32 v0, vcc, s0, v0
	v_addc_co_u32_e32 v1, vcc, v2, v1, vcc
	global_load_dwordx2 v[2:3], v[0:1], off
	s_waitcnt vmcnt(0)
	v_pk_add_f32 v[2:3], v[2:3], 0 neg_lo:[1,1] neg_hi:[1,1]
	global_store_dwordx2 v[0:1], v[2:3], off
.LBB42_2:
	s_endpgm
	.section	.rodata,"a",@progbits
	.p2align	6, 0x0
	.amdhsa_kernel _ZN9rocsolver6v33100L7set_tauI19rocblas_complex_numIfEEEviPT_l
		.amdhsa_group_segment_fixed_size 0
		.amdhsa_private_segment_fixed_size 0
		.amdhsa_kernarg_size 280
		.amdhsa_user_sgpr_count 6
		.amdhsa_user_sgpr_private_segment_buffer 1
		.amdhsa_user_sgpr_dispatch_ptr 0
		.amdhsa_user_sgpr_queue_ptr 0
		.amdhsa_user_sgpr_kernarg_segment_ptr 1
		.amdhsa_user_sgpr_dispatch_id 0
		.amdhsa_user_sgpr_flat_scratch_init 0
		.amdhsa_user_sgpr_kernarg_preload_length 0
		.amdhsa_user_sgpr_kernarg_preload_offset 0
		.amdhsa_user_sgpr_private_segment_size 0
		.amdhsa_uses_dynamic_stack 0
		.amdhsa_system_sgpr_private_segment_wavefront_offset 0
		.amdhsa_system_sgpr_workgroup_id_x 1
		.amdhsa_system_sgpr_workgroup_id_y 1
		.amdhsa_system_sgpr_workgroup_id_z 0
		.amdhsa_system_sgpr_workgroup_info 0
		.amdhsa_system_vgpr_workitem_id 0
		.amdhsa_next_free_vgpr 4
		.amdhsa_next_free_sgpr 8
		.amdhsa_accum_offset 4
		.amdhsa_reserve_vcc 1
		.amdhsa_reserve_flat_scratch 0
		.amdhsa_float_round_mode_32 0
		.amdhsa_float_round_mode_16_64 0
		.amdhsa_float_denorm_mode_32 3
		.amdhsa_float_denorm_mode_16_64 3
		.amdhsa_dx10_clamp 1
		.amdhsa_ieee_mode 1
		.amdhsa_fp16_overflow 0
		.amdhsa_tg_split 0
		.amdhsa_exception_fp_ieee_invalid_op 0
		.amdhsa_exception_fp_denorm_src 0
		.amdhsa_exception_fp_ieee_div_zero 0
		.amdhsa_exception_fp_ieee_overflow 0
		.amdhsa_exception_fp_ieee_underflow 0
		.amdhsa_exception_fp_ieee_inexact 0
		.amdhsa_exception_int_div_zero 0
	.end_amdhsa_kernel
	.section	.text._ZN9rocsolver6v33100L7set_tauI19rocblas_complex_numIfEEEviPT_l,"axG",@progbits,_ZN9rocsolver6v33100L7set_tauI19rocblas_complex_numIfEEEviPT_l,comdat
.Lfunc_end42:
	.size	_ZN9rocsolver6v33100L7set_tauI19rocblas_complex_numIfEEEviPT_l, .Lfunc_end42-_ZN9rocsolver6v33100L7set_tauI19rocblas_complex_numIfEEEviPT_l
                                        ; -- End function
	.section	.AMDGPU.csdata,"",@progbits
; Kernel info:
; codeLenInByte = 144
; NumSgprs: 12
; NumVgprs: 4
; NumAgprs: 0
; TotalNumVgprs: 4
; ScratchSize: 0
; MemoryBound: 0
; FloatMode: 240
; IeeeMode: 1
; LDSByteSize: 0 bytes/workgroup (compile time only)
; SGPRBlocks: 1
; VGPRBlocks: 0
; NumSGPRsForWavesPerEU: 12
; NumVGPRsForWavesPerEU: 4
; AccumOffset: 4
; Occupancy: 8
; WaveLimiterHint : 0
; COMPUTE_PGM_RSRC2:SCRATCH_EN: 0
; COMPUTE_PGM_RSRC2:USER_SGPR: 6
; COMPUTE_PGM_RSRC2:TRAP_HANDLER: 0
; COMPUTE_PGM_RSRC2:TGID_X_EN: 1
; COMPUTE_PGM_RSRC2:TGID_Y_EN: 1
; COMPUTE_PGM_RSRC2:TGID_Z_EN: 0
; COMPUTE_PGM_RSRC2:TIDIG_COMP_CNT: 0
; COMPUTE_PGM_RSRC3_GFX90A:ACCUM_OFFSET: 0
; COMPUTE_PGM_RSRC3_GFX90A:TG_SPLIT: 0
	.section	.text._ZN9rocsolver6v33100L20larft_kernel_forwardI19rocblas_complex_numIfEPS3_EEv15rocblas_storev_iiT0_iilPT_lS8_il,"axG",@progbits,_ZN9rocsolver6v33100L20larft_kernel_forwardI19rocblas_complex_numIfEPS3_EEv15rocblas_storev_iiT0_iilPT_lS8_il,comdat
	.globl	_ZN9rocsolver6v33100L20larft_kernel_forwardI19rocblas_complex_numIfEPS3_EEv15rocblas_storev_iiT0_iilPT_lS8_il ; -- Begin function _ZN9rocsolver6v33100L20larft_kernel_forwardI19rocblas_complex_numIfEPS3_EEv15rocblas_storev_iiT0_iilPT_lS8_il
	.p2align	8
	.type	_ZN9rocsolver6v33100L20larft_kernel_forwardI19rocblas_complex_numIfEPS3_EEv15rocblas_storev_iiT0_iilPT_lS8_il,@function
_ZN9rocsolver6v33100L20larft_kernel_forwardI19rocblas_complex_numIfEPS3_EEv15rocblas_storev_iiT0_iilPT_lS8_il: ; @_ZN9rocsolver6v33100L20larft_kernel_forwardI19rocblas_complex_numIfEPS3_EEv15rocblas_storev_iiT0_iilPT_lS8_il
; %bb.0:
	s_load_dword s2, s[4:5], 0x5c
	s_load_dword s33, s[4:5], 0x40
	s_load_dwordx2 s[0:1], s[4:5], 0x48
	s_load_dwordx4 s[16:19], s[4:5], 0x0
	s_load_dwordx8 s[8:15], s[4:5], 0x20
	s_waitcnt lgkmcnt(0)
	s_and_b32 s19, s2, 0xffff
	s_ashr_i32 s6, s7, 31
	s_mul_i32 s1, s7, s1
	s_mul_hi_u32 s2, s7, s0
	s_add_i32 s1, s2, s1
	s_mul_i32 s2, s6, s0
	s_add_i32 s1, s1, s2
	s_mul_i32 s0, s7, s0
	s_lshl_b64 s[0:1], s[0:1], 3
	s_add_u32 s36, s14, s0
	s_addc_u32 s37, s15, s1
	v_cmp_gt_i32_e64 s[0:1], s18, v0
	v_lshlrev_b32_e32 v1, 3, v0
	s_and_saveexec_b64 s[2:3], s[0:1]
	s_cbranch_execz .LBB43_5
; %bb.1:
	v_add_u32_e32 v2, 8, v1
	v_mul_lo_u32 v2, s18, v2
	s_lshl_b32 s22, s18, 3
	v_add3_u32 v6, v2, v1, 0
	s_add_i32 s23, s22, 8
	s_add_i32 s24, s33, 1
	v_mad_u64_u32 v[2:3], s[14:15], v0, s33, v[0:1]
	s_mul_i32 s23, s23, s19
	s_mul_i32 s24, s24, s19
	s_mov_b64 s[14:15], 0
	v_mov_b32_e32 v3, s37
	v_mov_b32_e32 v7, v0
.LBB43_2:                               ; =>This Loop Header: Depth=1
                                        ;     Child Loop BB43_3 Depth 2
	s_mov_b64 s[20:21], 0
	v_mov_b32_e32 v4, v2
	v_mov_b32_e32 v8, v6
	;; [unrolled: 1-line block ×3, first 2 shown]
.LBB43_3:                               ;   Parent Loop BB43_2 Depth=1
                                        ; =>  This Inner Loop Header: Depth=2
	v_ashrrev_i32_e32 v5, 31, v4
	v_lshlrev_b64 v[10:11], 3, v[4:5]
	v_add_co_u32_e32 v10, vcc, s36, v10
	v_addc_co_u32_e32 v11, vcc, v3, v11, vcc
	global_load_dwordx2 v[10:11], v[10:11], off
	v_add_u32_e32 v9, 1, v9
	v_cmp_le_i32_e32 vcc, s18, v9
	v_add_u32_e32 v4, s33, v4
	s_or_b64 s[20:21], vcc, s[20:21]
	s_waitcnt vmcnt(0)
	ds_write_b64 v8, v[10:11]
	v_add_u32_e32 v8, s22, v8
	s_andn2_b64 exec, exec, s[20:21]
	s_cbranch_execnz .LBB43_3
; %bb.4:                                ;   in Loop: Header=BB43_2 Depth=1
	s_or_b64 exec, exec, s[20:21]
	v_add_u32_e32 v7, s19, v7
	v_cmp_le_i32_e32 vcc, s18, v7
	v_add_u32_e32 v6, s23, v6
	s_or_b64 s[14:15], vcc, s[14:15]
	v_add_u32_e32 v2, s24, v2
	s_andn2_b64 exec, exec, s[14:15]
	s_cbranch_execnz .LBB43_2
.LBB43_5:
	s_or_b64 exec, exec, s[2:3]
	s_cmp_lt_i32 s18, 2
	s_waitcnt lgkmcnt(0)
	s_barrier
	s_cbranch_scc1 .LBB43_29
; %bb.6:
	s_load_dwordx4 s[20:23], s[4:5], 0x10
	s_mul_i32 s2, s7, s13
	s_mul_hi_u32 s3, s7, s12
	s_add_i32 s4, s3, s2
	s_mul_i32 s5, s6, s12
	s_add_i32 s5, s4, s5
	s_mul_i32 s4, s7, s12
	s_waitcnt lgkmcnt(0)
	s_ashr_i32 s3, s22, 31
	s_lshl_b64 s[4:5], s[4:5], 3
	s_mov_b32 s2, s22
	s_add_u32 s22, s10, s4
	s_addc_u32 s38, s11, s5
	s_lshl_b32 s39, s18, 3
	s_add_i32 s40, s39, 0
	s_cmpk_lg_i32 s16, 0xb5
	s_mul_i32 s4, s8, s6
	s_mul_hi_u32 s6, s8, s7
	s_cselect_b64 s[10:11], -1, 0
	s_add_i32 s4, s6, s4
	s_mul_i32 s6, s9, s7
	s_add_i32 s9, s4, s6
	s_mul_i32 s8, s8, s7
	s_lshl_b64 s[12:13], s[8:9], 3
	s_add_u32 s16, s12, 8
	s_addc_u32 s41, s13, 0
	s_lshl_b64 s[2:3], s[2:3], 3
	s_add_u32 s42, s20, s2
	s_addc_u32 s43, s21, s3
	s_ashr_i32 s9, s23, 31
	s_mov_b32 s8, s23
	s_lshl_b32 s6, s23, 1
	s_lshl_b64 s[8:9], s[8:9], 3
	s_lshl_b32 s44, s19, 3
	s_add_u32 s2, s12, s2
	s_addc_u32 s3, s13, s3
	s_add_u32 s2, s2, s20
	s_addc_u32 s3, s3, s21
	v_add_co_u32_e32 v2, vcc, s12, v1
	s_add_u32 s12, s2, 16
	v_add_u32_e32 v4, 8, v1
	s_mov_b32 s5, 0
	v_mov_b32_e32 v3, s13
	s_addc_u32 s13, s3, 0
	v_mul_lo_u32 v4, s18, v4
	s_add_i32 s47, s39, 8
	s_mov_b32 s4, 1
	v_addc_co_u32_e32 v3, vcc, 0, v3, vcc
	s_mov_b32 s45, s5
	v_mul_lo_u32 v10, v0, s23
	s_mul_i32 s46, s23, s19
	v_add3_u32 v11, v4, v1, 0
	s_mul_i32 s47, s47, s19
	v_add_u32_e32 v12, 0, v1
	s_mov_b32 s14, s23
	s_branch .LBB43_8
.LBB43_7:                               ;   in Loop: Header=BB43_8 Depth=1
	s_or_b64 exec, exec, s[2:3]
	s_add_i32 s4, s4, 1
	s_add_u32 s16, s16, 8
	s_addc_u32 s41, s41, 0
	s_add_i32 s6, s6, s23
	s_add_u32 s12, s12, 8
	s_addc_u32 s13, s13, 0
	s_add_i32 s14, s14, s23
	s_cmp_eq_u32 s4, s18
	s_waitcnt lgkmcnt(0)
	s_barrier
	s_cbranch_scc1 .LBB43_29
.LBB43_8:                               ; =>This Loop Header: Depth=1
                                        ;     Child Loop BB43_12 Depth 2
                                        ;       Child Loop BB43_14 Depth 3
                                        ;     Child Loop BB43_20 Depth 2
                                        ;       Child Loop BB43_22 Depth 3
	;; [unrolled: 2-line block ×3, first 2 shown]
	s_mul_i32 s2, s4, s18
	s_not_b32 s49, s4
	s_lshl_b32 s2, s2, 3
	s_add_i32 s49, s49, s17
	s_add_i32 s48, s40, s2
	s_mov_b64 s[20:21], -1
	s_and_b64 vcc, exec, s[10:11]
	v_cmp_gt_u32_e64 s[2:3], s4, v0
	s_cbranch_vccz .LBB43_16
; %bb.9:                                ;   in Loop: Header=BB43_8 Depth=1
	s_and_saveexec_b64 s[20:21], s[2:3]
	s_cbranch_execz .LBB43_15
; %bb.10:                               ;   in Loop: Header=BB43_8 Depth=1
	s_ashr_i32 s7, s6, 31
	s_lshl_b64 s[2:3], s[6:7], 3
	s_add_u32 s2, s42, s2
	s_addc_u32 s3, s43, s3
	s_cmp_gt_i32 s49, 0
	s_cselect_b64 s[24:25], -1, 0
	s_lshl_b64 s[26:27], s[4:5], 3
	s_add_u32 s26, s22, s26
	s_addc_u32 s27, s38, s27
	s_load_dwordx2 s[26:27], s[26:27], 0x0
	s_mov_b64 s[28:29], 0
	v_pk_mov_b32 v[4:5], v[2:3], v[2:3] op_sel:[0,1]
	v_mov_b32_e32 v8, v0
	s_waitcnt lgkmcnt(0)
	s_mov_b32 s30, s26
	s_mov_b32 s31, s26
	s_mov_b32 s26, s27
	s_branch .LBB43_12
.LBB43_11:                              ;   in Loop: Header=BB43_12 Depth=2
	v_lshlrev_b32_e32 v9, 3, v8
	v_add_u32_e32 v13, s48, v9
	ds_read_b64 v[16:17], v13
	v_pk_mul_f32 v[14:15], v[6:7], s[26:27]
	v_pk_fma_f32 v[18:19], v[6:7], s[30:31], v[14:15] op_sel:[0,0,1] op_sel_hi:[1,1,0] neg_lo:[0,0,1] neg_hi:[0,0,1]
	v_pk_fma_f32 v[6:7], v[6:7], s[30:31], v[14:15] op_sel:[0,0,1] op_sel_hi:[1,1,0]
	v_mov_b32_e32 v19, v7
	v_add_u32_e32 v8, s19, v8
	v_add_u32_e32 v9, 0, v9
	s_waitcnt lgkmcnt(0)
	v_pk_add_f32 v[6:7], v[16:17], v[18:19]
	v_cmp_le_u32_e32 vcc, s4, v8
	ds_write_b64 v9, v[6:7]
	v_mov_b32_e32 v6, s45
	s_or_b64 s[28:29], vcc, s[28:29]
	v_add_co_u32_e32 v4, vcc, s44, v4
	v_addc_co_u32_e32 v5, vcc, v5, v6, vcc
	s_andn2_b64 exec, exec, s[28:29]
	s_cbranch_execz .LBB43_15
.LBB43_12:                              ;   Parent Loop BB43_8 Depth=1
                                        ; =>  This Loop Header: Depth=2
                                        ;       Child Loop BB43_14 Depth 3
	v_mov_b32_e32 v7, 0
	s_andn2_b64 vcc, exec, s[24:25]
	v_mov_b32_e32 v6, v7
	s_cbranch_vccnz .LBB43_11
; %bb.13:                               ;   in Loop: Header=BB43_12 Depth=2
	v_mov_b32_e32 v6, 0
	s_mov_b32 s7, 0
	s_mov_b64 s[34:35], s[2:3]
	v_mov_b32_e32 v7, v6
.LBB43_14:                              ;   Parent Loop BB43_8 Depth=1
                                        ;     Parent Loop BB43_12 Depth=2
                                        ; =>    This Inner Loop Header: Depth=3
	v_mov_b32_e32 v9, s35
	v_add_co_u32_e32 v14, vcc, s34, v4
	v_addc_co_u32_e32 v15, vcc, v9, v5, vcc
	global_load_dwordx2 v[14:15], v[14:15], off
	s_add_u32 s50, s34, s16
	s_addc_u32 s51, s35, s41
	s_load_dwordx2 s[50:51], s[50:51], 0x0
	s_add_i32 s7, s7, 1
	s_add_u32 s34, s34, s8
	s_addc_u32 s35, s35, s9
	s_cmp_ge_i32 s7, s49
	s_waitcnt vmcnt(0) lgkmcnt(0)
	v_pk_mul_f32 v[16:17], s[50:51], v[14:15] op_sel:[0,1]
	v_pk_fma_f32 v[18:19], s[50:51], v[14:15], v[16:17] op_sel:[0,0,1] op_sel_hi:[1,1,0]
	v_pk_fma_f32 v[14:15], s[50:51], v[14:15], v[16:17] op_sel:[0,0,1] op_sel_hi:[1,0,0] neg_lo:[1,0,0] neg_hi:[1,0,0]
	v_mov_b32_e32 v19, v15
	v_pk_add_f32 v[6:7], v[6:7], v[18:19]
	s_cbranch_scc0 .LBB43_14
	s_branch .LBB43_11
.LBB43_15:                              ;   in Loop: Header=BB43_8 Depth=1
	s_or_b64 exec, exec, s[20:21]
	s_mov_b64 s[20:21], 0
.LBB43_16:                              ;   in Loop: Header=BB43_8 Depth=1
	s_andn2_b64 vcc, exec, s[20:21]
	s_cbranch_vccnz .LBB43_24
; %bb.17:                               ;   in Loop: Header=BB43_8 Depth=1
	v_cmp_gt_u32_e32 vcc, s4, v0
	s_and_saveexec_b64 s[2:3], vcc
	s_cbranch_execz .LBB43_23
; %bb.18:                               ;   in Loop: Header=BB43_8 Depth=1
	s_ashr_i32 s15, s14, 31
	s_lshl_b64 s[20:21], s[14:15], 3
	s_cmp_gt_i32 s49, 0
	s_cselect_b64 s[24:25], -1, 0
	s_lshl_b64 s[26:27], s[4:5], 3
	s_add_u32 s26, s22, s26
	s_addc_u32 s27, s38, s27
	s_load_dwordx2 s[26:27], s[26:27], 0x0
	s_mov_b64 s[28:29], 0
	v_mov_b32_e32 v4, v10
	v_mov_b32_e32 v13, v0
	s_waitcnt lgkmcnt(0)
	s_mov_b32 s30, s26
	s_mov_b32 s31, s26
	;; [unrolled: 1-line block ×3, first 2 shown]
	s_branch .LBB43_20
.LBB43_19:                              ;   in Loop: Header=BB43_20 Depth=2
	v_lshlrev_b32_e32 v5, 3, v13
	v_add_u32_e32 v14, s48, v5
	ds_read_b64 v[14:15], v14
	v_pk_mul_f32 v[8:9], v[6:7], s[26:27]
	v_pk_fma_f32 v[16:17], v[6:7], s[30:31], v[8:9] op_sel:[0,0,1] op_sel_hi:[1,1,0] neg_lo:[0,0,1] neg_hi:[0,0,1]
	v_pk_fma_f32 v[6:7], v[6:7], s[30:31], v[8:9] op_sel:[0,0,1] op_sel_hi:[1,1,0]
	v_add_u32_e32 v13, s19, v13
	v_mov_b32_e32 v17, v7
	v_cmp_le_u32_e32 vcc, s4, v13
	v_add_u32_e32 v5, 0, v5
	s_waitcnt lgkmcnt(0)
	v_pk_add_f32 v[6:7], v[14:15], v[16:17]
	s_or_b64 s[28:29], vcc, s[28:29]
	v_add_u32_e32 v4, s46, v4
	ds_write_b64 v5, v[6:7]
	s_andn2_b64 exec, exec, s[28:29]
	s_cbranch_execz .LBB43_23
.LBB43_20:                              ;   Parent Loop BB43_8 Depth=1
                                        ; =>  This Loop Header: Depth=2
                                        ;       Child Loop BB43_22 Depth 3
	v_mov_b32_e32 v7, 0
	s_andn2_b64 vcc, exec, s[24:25]
	v_mov_b32_e32 v6, v7
	s_cbranch_vccnz .LBB43_19
; %bb.21:                               ;   in Loop: Header=BB43_20 Depth=2
	v_ashrrev_i32_e32 v5, 31, v4
	v_mov_b32_e32 v6, 0
	v_lshlrev_b64 v[8:9], 3, v[4:5]
	s_mov_b32 s7, 0
	s_mov_b64 s[34:35], s[12:13]
	v_mov_b32_e32 v7, v6
.LBB43_22:                              ;   Parent Loop BB43_8 Depth=1
                                        ;     Parent Loop BB43_20 Depth=2
                                        ; =>    This Inner Loop Header: Depth=3
	v_mov_b32_e32 v5, s35
	v_add_co_u32_e32 v14, vcc, s34, v8
	v_addc_co_u32_e32 v15, vcc, v5, v9, vcc
	global_load_dwordx2 v[14:15], v[14:15], off
	s_add_u32 s50, s34, s20
	s_addc_u32 s51, s35, s21
	s_load_dwordx2 s[50:51], s[50:51], 0x0
	s_add_i32 s7, s7, 1
	s_add_u32 s34, s34, 8
	s_addc_u32 s35, s35, 0
	s_cmp_ge_i32 s7, s49
	s_waitcnt vmcnt(0) lgkmcnt(0)
	v_pk_mul_f32 v[16:17], v[14:15], s[50:51] op_sel:[1,0]
	v_pk_fma_f32 v[18:19], v[14:15], s[50:51], v[16:17] op_sel:[0,0,1] op_sel_hi:[1,1,0]
	v_pk_fma_f32 v[14:15], v[14:15], s[50:51], v[16:17] op_sel:[0,0,1] op_sel_hi:[0,1,0] neg_lo:[0,0,1] neg_hi:[0,0,1]
	v_mov_b32_e32 v19, v15
	v_pk_add_f32 v[6:7], v[6:7], v[18:19]
	s_cbranch_scc0 .LBB43_22
	s_branch .LBB43_19
.LBB43_23:                              ;   in Loop: Header=BB43_8 Depth=1
	s_or_b64 exec, exec, s[2:3]
.LBB43_24:                              ;   in Loop: Header=BB43_8 Depth=1
	v_cmp_gt_u32_e32 vcc, s4, v0
	s_waitcnt lgkmcnt(0)
	s_barrier
	s_and_saveexec_b64 s[2:3], vcc
	s_cbranch_execz .LBB43_7
; %bb.25:                               ;   in Loop: Header=BB43_8 Depth=1
	s_mov_b64 s[20:21], 0
	v_mov_b32_e32 v6, v12
	v_mov_b32_e32 v7, v11
	;; [unrolled: 1-line block ×3, first 2 shown]
.LBB43_26:                              ;   Parent Loop BB43_8 Depth=1
                                        ; =>  This Loop Header: Depth=2
                                        ;       Child Loop BB43_27 Depth 3
	v_mov_b32_e32 v4, 0
	s_mov_b64 s[24:25], 0
	v_mov_b32_e32 v9, v6
	v_mov_b32_e32 v13, v7
	;; [unrolled: 1-line block ×4, first 2 shown]
.LBB43_27:                              ;   Parent Loop BB43_8 Depth=1
                                        ;     Parent Loop BB43_26 Depth=2
                                        ; =>    This Inner Loop Header: Depth=3
	ds_read_b64 v[16:17], v13
	ds_read_b64 v[18:19], v9
	v_add_u32_e32 v14, 1, v14
	v_cmp_le_u32_e32 vcc, s4, v14
	v_add_u32_e32 v13, s39, v13
	v_add_u32_e32 v9, 8, v9
	s_waitcnt lgkmcnt(0)
	v_pk_mul_f32 v[20:21], v[18:19], v[16:17] op_sel:[0,1]
	v_pk_fma_f32 v[22:23], v[18:19], v[16:17], v[20:21] op_sel:[0,0,1] op_sel_hi:[1,1,0] neg_lo:[0,0,1] neg_hi:[0,0,1]
	v_pk_fma_f32 v[16:17], v[18:19], v[16:17], v[20:21] op_sel:[0,0,1] op_sel_hi:[1,0,0]
	v_mov_b32_e32 v23, v17
	s_or_b64 s[24:25], vcc, s[24:25]
	v_pk_add_f32 v[4:5], v[4:5], v[22:23]
	s_andn2_b64 exec, exec, s[24:25]
	s_cbranch_execnz .LBB43_27
; %bb.28:                               ;   in Loop: Header=BB43_26 Depth=2
	s_or_b64 exec, exec, s[24:25]
	v_lshl_add_u32 v9, v8, 3, s48
	v_add_u32_e32 v8, s19, v8
	v_cmp_le_u32_e32 vcc, s4, v8
	v_add_u32_e32 v7, s47, v7
	s_or_b64 s[20:21], vcc, s[20:21]
	v_add_u32_e32 v6, s44, v6
	ds_write_b64 v9, v[4:5]
	s_andn2_b64 exec, exec, s[20:21]
	s_cbranch_execnz .LBB43_26
	s_branch .LBB43_7
.LBB43_29:
	s_and_saveexec_b64 s[2:3], s[0:1]
	s_cbranch_execz .LBB43_34
; %bb.30:
	v_mad_u64_u32 v[2:3], s[0:1], v0, s33, v[0:1]
	v_add_u32_e32 v3, 8, v1
	s_lshl_b32 s7, s18, 3
	s_add_i32 s6, s33, 1
	v_mul_lo_u32 v3, s18, v3
	s_add_i32 s8, s7, 8
	s_mul_i32 s6, s6, s19
	v_add3_u32 v1, v3, v1, 0
	s_mul_i32 s8, s8, s19
	s_mov_b64 s[2:3], 0
	v_mov_b32_e32 v3, s37
.LBB43_31:                              ; =>This Loop Header: Depth=1
                                        ;     Child Loop BB43_32 Depth 2
	s_mov_b64 s[4:5], 0
	v_mov_b32_e32 v6, v1
	v_mov_b32_e32 v4, v2
	v_mov_b32_e32 v7, v0
.LBB43_32:                              ;   Parent Loop BB43_31 Depth=1
                                        ; =>  This Inner Loop Header: Depth=2
	ds_read_b64 v[8:9], v6
	v_ashrrev_i32_e32 v5, 31, v4
	v_add_u32_e32 v7, 1, v7
	v_lshlrev_b64 v[10:11], 3, v[4:5]
	v_cmp_le_i32_e32 vcc, s18, v7
	v_add_co_u32_e64 v10, s[0:1], s36, v10
	v_add_u32_e32 v6, s7, v6
	v_add_u32_e32 v4, s33, v4
	v_addc_co_u32_e64 v11, s[0:1], v3, v11, s[0:1]
	s_or_b64 s[4:5], vcc, s[4:5]
	s_waitcnt lgkmcnt(0)
	global_store_dwordx2 v[10:11], v[8:9], off
	s_andn2_b64 exec, exec, s[4:5]
	s_cbranch_execnz .LBB43_32
; %bb.33:                               ;   in Loop: Header=BB43_31 Depth=1
	s_or_b64 exec, exec, s[4:5]
	v_add_u32_e32 v0, s19, v0
	v_cmp_le_i32_e32 vcc, s18, v0
	v_add_u32_e32 v2, s6, v2
	s_or_b64 s[2:3], vcc, s[2:3]
	v_add_u32_e32 v1, s8, v1
	s_andn2_b64 exec, exec, s[2:3]
	s_cbranch_execnz .LBB43_31
.LBB43_34:
	s_endpgm
	.section	.rodata,"a",@progbits
	.p2align	6, 0x0
	.amdhsa_kernel _ZN9rocsolver6v33100L20larft_kernel_forwardI19rocblas_complex_numIfEPS3_EEv15rocblas_storev_iiT0_iilPT_lS8_il
		.amdhsa_group_segment_fixed_size 0
		.amdhsa_private_segment_fixed_size 0
		.amdhsa_kernarg_size 336
		.amdhsa_user_sgpr_count 6
		.amdhsa_user_sgpr_private_segment_buffer 1
		.amdhsa_user_sgpr_dispatch_ptr 0
		.amdhsa_user_sgpr_queue_ptr 0
		.amdhsa_user_sgpr_kernarg_segment_ptr 1
		.amdhsa_user_sgpr_dispatch_id 0
		.amdhsa_user_sgpr_flat_scratch_init 0
		.amdhsa_user_sgpr_kernarg_preload_length 0
		.amdhsa_user_sgpr_kernarg_preload_offset 0
		.amdhsa_user_sgpr_private_segment_size 0
		.amdhsa_uses_dynamic_stack 0
		.amdhsa_system_sgpr_private_segment_wavefront_offset 0
		.amdhsa_system_sgpr_workgroup_id_x 1
		.amdhsa_system_sgpr_workgroup_id_y 1
		.amdhsa_system_sgpr_workgroup_id_z 0
		.amdhsa_system_sgpr_workgroup_info 0
		.amdhsa_system_vgpr_workitem_id 0
		.amdhsa_next_free_vgpr 24
		.amdhsa_next_free_sgpr 52
		.amdhsa_accum_offset 24
		.amdhsa_reserve_vcc 1
		.amdhsa_reserve_flat_scratch 0
		.amdhsa_float_round_mode_32 0
		.amdhsa_float_round_mode_16_64 0
		.amdhsa_float_denorm_mode_32 3
		.amdhsa_float_denorm_mode_16_64 3
		.amdhsa_dx10_clamp 1
		.amdhsa_ieee_mode 1
		.amdhsa_fp16_overflow 0
		.amdhsa_tg_split 0
		.amdhsa_exception_fp_ieee_invalid_op 0
		.amdhsa_exception_fp_denorm_src 0
		.amdhsa_exception_fp_ieee_div_zero 0
		.amdhsa_exception_fp_ieee_overflow 0
		.amdhsa_exception_fp_ieee_underflow 0
		.amdhsa_exception_fp_ieee_inexact 0
		.amdhsa_exception_int_div_zero 0
	.end_amdhsa_kernel
	.section	.text._ZN9rocsolver6v33100L20larft_kernel_forwardI19rocblas_complex_numIfEPS3_EEv15rocblas_storev_iiT0_iilPT_lS8_il,"axG",@progbits,_ZN9rocsolver6v33100L20larft_kernel_forwardI19rocblas_complex_numIfEPS3_EEv15rocblas_storev_iiT0_iilPT_lS8_il,comdat
.Lfunc_end43:
	.size	_ZN9rocsolver6v33100L20larft_kernel_forwardI19rocblas_complex_numIfEPS3_EEv15rocblas_storev_iiT0_iilPT_lS8_il, .Lfunc_end43-_ZN9rocsolver6v33100L20larft_kernel_forwardI19rocblas_complex_numIfEPS3_EEv15rocblas_storev_iiT0_iilPT_lS8_il
                                        ; -- End function
	.section	.AMDGPU.csdata,"",@progbits
; Kernel info:
; codeLenInByte = 1680
; NumSgprs: 56
; NumVgprs: 24
; NumAgprs: 0
; TotalNumVgprs: 24
; ScratchSize: 0
; MemoryBound: 0
; FloatMode: 240
; IeeeMode: 1
; LDSByteSize: 0 bytes/workgroup (compile time only)
; SGPRBlocks: 6
; VGPRBlocks: 2
; NumSGPRsForWavesPerEU: 56
; NumVGPRsForWavesPerEU: 24
; AccumOffset: 24
; Occupancy: 8
; WaveLimiterHint : 0
; COMPUTE_PGM_RSRC2:SCRATCH_EN: 0
; COMPUTE_PGM_RSRC2:USER_SGPR: 6
; COMPUTE_PGM_RSRC2:TRAP_HANDLER: 0
; COMPUTE_PGM_RSRC2:TGID_X_EN: 1
; COMPUTE_PGM_RSRC2:TGID_Y_EN: 1
; COMPUTE_PGM_RSRC2:TGID_Z_EN: 0
; COMPUTE_PGM_RSRC2:TIDIG_COMP_CNT: 0
; COMPUTE_PGM_RSRC3_GFX90A:ACCUM_OFFSET: 5
; COMPUTE_PGM_RSRC3_GFX90A:TG_SPLIT: 0
	.section	.text._ZN9rocsolver6v33100L13conj_in_placeI19rocblas_complex_numIfEiPS3_TnNSt9enable_ifIX18rocblas_is_complexIT_EEiE4typeELi0EEEvT0_S9_T1_lS9_l,"axG",@progbits,_ZN9rocsolver6v33100L13conj_in_placeI19rocblas_complex_numIfEiPS3_TnNSt9enable_ifIX18rocblas_is_complexIT_EEiE4typeELi0EEEvT0_S9_T1_lS9_l,comdat
	.globl	_ZN9rocsolver6v33100L13conj_in_placeI19rocblas_complex_numIfEiPS3_TnNSt9enable_ifIX18rocblas_is_complexIT_EEiE4typeELi0EEEvT0_S9_T1_lS9_l ; -- Begin function _ZN9rocsolver6v33100L13conj_in_placeI19rocblas_complex_numIfEiPS3_TnNSt9enable_ifIX18rocblas_is_complexIT_EEiE4typeELi0EEEvT0_S9_T1_lS9_l
	.p2align	8
	.type	_ZN9rocsolver6v33100L13conj_in_placeI19rocblas_complex_numIfEiPS3_TnNSt9enable_ifIX18rocblas_is_complexIT_EEiE4typeELi0EEEvT0_S9_T1_lS9_l,@function
_ZN9rocsolver6v33100L13conj_in_placeI19rocblas_complex_numIfEiPS3_TnNSt9enable_ifIX18rocblas_is_complexIT_EEiE4typeELi0EEEvT0_S9_T1_lS9_l: ; @_ZN9rocsolver6v33100L13conj_in_placeI19rocblas_complex_numIfEiPS3_TnNSt9enable_ifIX18rocblas_is_complexIT_EEiE4typeELi0EEEvT0_S9_T1_lS9_l
; %bb.0:
	s_load_dword s2, s[4:5], 0x34
	s_load_dwordx2 s[0:1], s[4:5], 0x0
	v_and_b32_e32 v1, 0x3ff, v0
	v_bfe_u32 v0, v0, 10, 10
	s_waitcnt lgkmcnt(0)
	s_lshr_b32 s3, s2, 16
	s_and_b32 s2, s2, 0xffff
	s_mul_i32 s6, s6, s2
	s_mul_i32 s7, s7, s3
	v_add_u32_e32 v2, s6, v1
	v_add_u32_e32 v0, s7, v0
	v_cmp_gt_i32_e32 vcc, s0, v2
	v_cmp_gt_i32_e64 s[0:1], s1, v0
	s_and_b64 s[0:1], vcc, s[0:1]
	s_and_saveexec_b64 s[2:3], s[0:1]
	s_cbranch_execz .LBB44_2
; %bb.1:
	s_load_dwordx2 s[6:7], s[4:5], 0x20
	s_load_dwordx4 s[0:3], s[4:5], 0x8
	s_load_dword s9, s[4:5], 0x18
	s_ashr_i32 s4, s8, 31
	v_ashrrev_i32_e32 v3, 31, v2
	s_waitcnt lgkmcnt(0)
	s_mul_i32 s5, s8, s7
	s_mul_hi_u32 s7, s8, s6
	s_add_i32 s5, s7, s5
	s_mul_i32 s4, s4, s6
	s_add_i32 s5, s5, s4
	s_mul_i32 s4, s8, s6
	s_lshl_b64 s[4:5], s[4:5], 3
	s_add_u32 s4, s0, s4
	s_addc_u32 s5, s1, s5
	s_lshl_b64 s[0:1], s[2:3], 3
	s_add_u32 s2, s4, s0
	s_addc_u32 s3, s5, s1
	v_mad_i64_i32 v[0:1], s[0:1], v0, s9, 0
	v_lshlrev_b64 v[4:5], 3, v[0:1]
	v_mov_b32_e32 v1, s3
	v_add_co_u32_e32 v6, vcc, s2, v4
	v_addc_co_u32_e32 v1, vcc, v1, v5, vcc
	v_lshlrev_b64 v[4:5], 3, v[2:3]
	v_add_co_u32_e32 v4, vcc, v6, v4
	v_addc_co_u32_e32 v5, vcc, v1, v5, vcc
	global_load_dwordx2 v[4:5], v[4:5], off
	v_add_u32_e32 v0, v0, v2
	v_ashrrev_i32_e32 v1, 31, v0
	v_lshlrev_b64 v[0:1], 3, v[0:1]
	v_mov_b32_e32 v2, s3
	v_add_co_u32_e32 v0, vcc, s2, v0
	v_addc_co_u32_e32 v1, vcc, v2, v1, vcc
	s_waitcnt vmcnt(0)
	v_xor_b32_e32 v5, 0x80000000, v5
	global_store_dwordx2 v[0:1], v[4:5], off
.LBB44_2:
	s_endpgm
	.section	.rodata,"a",@progbits
	.p2align	6, 0x0
	.amdhsa_kernel _ZN9rocsolver6v33100L13conj_in_placeI19rocblas_complex_numIfEiPS3_TnNSt9enable_ifIX18rocblas_is_complexIT_EEiE4typeELi0EEEvT0_S9_T1_lS9_l
		.amdhsa_group_segment_fixed_size 0
		.amdhsa_private_segment_fixed_size 0
		.amdhsa_kernarg_size 296
		.amdhsa_user_sgpr_count 6
		.amdhsa_user_sgpr_private_segment_buffer 1
		.amdhsa_user_sgpr_dispatch_ptr 0
		.amdhsa_user_sgpr_queue_ptr 0
		.amdhsa_user_sgpr_kernarg_segment_ptr 1
		.amdhsa_user_sgpr_dispatch_id 0
		.amdhsa_user_sgpr_flat_scratch_init 0
		.amdhsa_user_sgpr_kernarg_preload_length 0
		.amdhsa_user_sgpr_kernarg_preload_offset 0
		.amdhsa_user_sgpr_private_segment_size 0
		.amdhsa_uses_dynamic_stack 0
		.amdhsa_system_sgpr_private_segment_wavefront_offset 0
		.amdhsa_system_sgpr_workgroup_id_x 1
		.amdhsa_system_sgpr_workgroup_id_y 1
		.amdhsa_system_sgpr_workgroup_id_z 1
		.amdhsa_system_sgpr_workgroup_info 0
		.amdhsa_system_vgpr_workitem_id 1
		.amdhsa_next_free_vgpr 7
		.amdhsa_next_free_sgpr 10
		.amdhsa_accum_offset 8
		.amdhsa_reserve_vcc 1
		.amdhsa_reserve_flat_scratch 0
		.amdhsa_float_round_mode_32 0
		.amdhsa_float_round_mode_16_64 0
		.amdhsa_float_denorm_mode_32 3
		.amdhsa_float_denorm_mode_16_64 3
		.amdhsa_dx10_clamp 1
		.amdhsa_ieee_mode 1
		.amdhsa_fp16_overflow 0
		.amdhsa_tg_split 0
		.amdhsa_exception_fp_ieee_invalid_op 0
		.amdhsa_exception_fp_denorm_src 0
		.amdhsa_exception_fp_ieee_div_zero 0
		.amdhsa_exception_fp_ieee_overflow 0
		.amdhsa_exception_fp_ieee_underflow 0
		.amdhsa_exception_fp_ieee_inexact 0
		.amdhsa_exception_int_div_zero 0
	.end_amdhsa_kernel
	.section	.text._ZN9rocsolver6v33100L13conj_in_placeI19rocblas_complex_numIfEiPS3_TnNSt9enable_ifIX18rocblas_is_complexIT_EEiE4typeELi0EEEvT0_S9_T1_lS9_l,"axG",@progbits,_ZN9rocsolver6v33100L13conj_in_placeI19rocblas_complex_numIfEiPS3_TnNSt9enable_ifIX18rocblas_is_complexIT_EEiE4typeELi0EEEvT0_S9_T1_lS9_l,comdat
.Lfunc_end44:
	.size	_ZN9rocsolver6v33100L13conj_in_placeI19rocblas_complex_numIfEiPS3_TnNSt9enable_ifIX18rocblas_is_complexIT_EEiE4typeELi0EEEvT0_S9_T1_lS9_l, .Lfunc_end44-_ZN9rocsolver6v33100L13conj_in_placeI19rocblas_complex_numIfEiPS3_TnNSt9enable_ifIX18rocblas_is_complexIT_EEiE4typeELi0EEEvT0_S9_T1_lS9_l
                                        ; -- End function
	.section	.AMDGPU.csdata,"",@progbits
; Kernel info:
; codeLenInByte = 276
; NumSgprs: 14
; NumVgprs: 7
; NumAgprs: 0
; TotalNumVgprs: 7
; ScratchSize: 0
; MemoryBound: 0
; FloatMode: 240
; IeeeMode: 1
; LDSByteSize: 0 bytes/workgroup (compile time only)
; SGPRBlocks: 1
; VGPRBlocks: 0
; NumSGPRsForWavesPerEU: 14
; NumVGPRsForWavesPerEU: 7
; AccumOffset: 8
; Occupancy: 8
; WaveLimiterHint : 0
; COMPUTE_PGM_RSRC2:SCRATCH_EN: 0
; COMPUTE_PGM_RSRC2:USER_SGPR: 6
; COMPUTE_PGM_RSRC2:TRAP_HANDLER: 0
; COMPUTE_PGM_RSRC2:TGID_X_EN: 1
; COMPUTE_PGM_RSRC2:TGID_Y_EN: 1
; COMPUTE_PGM_RSRC2:TGID_Z_EN: 1
; COMPUTE_PGM_RSRC2:TIDIG_COMP_CNT: 1
; COMPUTE_PGM_RSRC3_GFX90A:ACCUM_OFFSET: 1
; COMPUTE_PGM_RSRC3_GFX90A:TG_SPLIT: 0
	.section	.text._ZN9rocsolver6v33100L21larft_kernel_backwardI19rocblas_complex_numIfEPS3_EEv15rocblas_storev_iiT0_iilPT_lS8_il,"axG",@progbits,_ZN9rocsolver6v33100L21larft_kernel_backwardI19rocblas_complex_numIfEPS3_EEv15rocblas_storev_iiT0_iilPT_lS8_il,comdat
	.globl	_ZN9rocsolver6v33100L21larft_kernel_backwardI19rocblas_complex_numIfEPS3_EEv15rocblas_storev_iiT0_iilPT_lS8_il ; -- Begin function _ZN9rocsolver6v33100L21larft_kernel_backwardI19rocblas_complex_numIfEPS3_EEv15rocblas_storev_iiT0_iilPT_lS8_il
	.p2align	8
	.type	_ZN9rocsolver6v33100L21larft_kernel_backwardI19rocblas_complex_numIfEPS3_EEv15rocblas_storev_iiT0_iilPT_lS8_il,@function
_ZN9rocsolver6v33100L21larft_kernel_backwardI19rocblas_complex_numIfEPS3_EEv15rocblas_storev_iiT0_iilPT_lS8_il: ; @_ZN9rocsolver6v33100L21larft_kernel_backwardI19rocblas_complex_numIfEPS3_EEv15rocblas_storev_iiT0_iilPT_lS8_il
; %bb.0:
	s_load_dword s2, s[4:5], 0x5c
	s_load_dword s30, s[4:5], 0x40
	s_load_dwordx2 s[0:1], s[4:5], 0x48
	s_load_dwordx4 s[16:19], s[4:5], 0x0
	s_load_dwordx8 s[8:15], s[4:5], 0x20
	s_waitcnt lgkmcnt(0)
	s_and_b32 s19, s2, 0xffff
	s_ashr_i32 s6, s7, 31
	s_mul_i32 s1, s7, s1
	s_mul_hi_u32 s2, s7, s0
	s_add_i32 s1, s2, s1
	s_mul_i32 s2, s6, s0
	s_add_i32 s1, s1, s2
	s_mul_i32 s0, s7, s0
	s_lshl_b64 s[0:1], s[0:1], 3
	s_add_u32 s31, s14, s0
	s_addc_u32 s33, s15, s1
	v_cmp_gt_i32_e64 s[0:1], s18, v0
	v_add_u32_e32 v1, 1, v0
	s_and_saveexec_b64 s[2:3], s[0:1]
	s_cbranch_execz .LBB45_5
; %bb.1:
	s_lshl_b32 s22, s18, 3
	s_add_i32 s14, s22, 0
	v_add_u32_e32 v4, 1, v0
	v_lshl_add_u32 v5, v0, 3, s14
	s_lshl_b32 s23, s19, 3
	s_mov_b64 s[14:15], 0
	v_mov_b32_e32 v6, s33
	v_mov_b32_e32 v7, v0
.LBB45_2:                               ; =>This Loop Header: Depth=1
                                        ;     Child Loop BB45_3 Depth 2
	s_mov_b64 s[20:21], 0
	v_mov_b32_e32 v2, v7
	v_mov_b32_e32 v8, v5
	s_mov_b32 s24, 0
.LBB45_3:                               ;   Parent Loop BB45_2 Depth=1
                                        ; =>  This Inner Loop Header: Depth=2
	v_ashrrev_i32_e32 v3, 31, v2
	v_lshlrev_b64 v[10:11], 3, v[2:3]
	v_add_co_u32_e32 v10, vcc, s31, v10
	v_addc_co_u32_e32 v11, vcc, v6, v11, vcc
	global_load_dwordx2 v[10:11], v[10:11], off
	s_add_i32 s24, s24, 1
	v_cmp_eq_u32_e32 vcc, s24, v4
	v_add_u32_e32 v2, s30, v2
	s_or_b64 s[20:21], vcc, s[20:21]
	s_waitcnt vmcnt(0)
	ds_write_b64 v8, v[10:11]
	v_add_u32_e32 v8, s22, v8
	s_andn2_b64 exec, exec, s[20:21]
	s_cbranch_execnz .LBB45_3
; %bb.4:                                ;   in Loop: Header=BB45_2 Depth=1
	s_or_b64 exec, exec, s[20:21]
	v_add_u32_e32 v7, s19, v7
	v_cmp_le_i32_e32 vcc, s18, v7
	v_add_u32_e32 v4, s19, v4
	s_or_b64 s[14:15], vcc, s[14:15]
	v_add_u32_e32 v5, s23, v5
	s_andn2_b64 exec, exec, s[14:15]
	s_cbranch_execnz .LBB45_2
.LBB45_5:
	s_or_b64 exec, exec, s[2:3]
	s_cmp_lt_i32 s18, 2
	s_waitcnt lgkmcnt(0)
	s_barrier
	s_cbranch_scc1 .LBB45_29
; %bb.6:
	s_load_dwordx4 s[20:23], s[4:5], 0x10
	s_mul_i32 s2, s7, s13
	s_mul_hi_u32 s3, s7, s12
	s_add_i32 s4, s3, s2
	s_mul_i32 s5, s6, s12
	s_add_i32 s5, s4, s5
	s_mul_i32 s4, s7, s12
	s_waitcnt lgkmcnt(0)
	s_ashr_i32 s3, s22, 31
	s_lshl_b64 s[4:5], s[4:5], 3
	s_mov_b32 s2, s22
	s_add_u32 s22, s10, s4
	s_addc_u32 s34, s11, s5
	s_lshl_b32 s35, s18, 3
	s_add_i32 s36, s35, 0
	s_add_i32 s4, s18, -2
	s_sub_i32 s37, s17, s18
	s_cmpk_lg_i32 s16, 0xb5
	s_mul_i32 s6, s8, s6
	s_mul_hi_u32 s12, s8, s7
	s_cselect_b64 s[10:11], -1, 0
	s_add_i32 s6, s12, s6
	s_mul_i32 s9, s9, s7
	s_add_i32 s9, s6, s9
	s_mul_i32 s8, s8, s7
	s_lshl_b64 s[6:7], s[8:9], 3
	s_lshl_b64 s[2:3], s[2:3], 3
	s_mov_b32 s5, 0
	s_add_u32 s8, s6, s2
	s_addc_u32 s9, s7, s3
	s_lshl_b64 s[2:3], s[4:5], 3
	s_add_u32 s6, s8, s2
	s_addc_u32 s7, s9, s3
	s_add_u32 s38, s20, s6
	s_addc_u32 s39, s21, s7
	s_ashr_i32 s7, s23, 31
	s_mov_b32 s6, s23
	s_lshl_b64 s[6:7], s[6:7], 3
	s_add_u32 s40, s20, s8
	s_addc_u32 s41, s21, s9
	s_add_u32 s2, s40, s2
	s_addc_u32 s3, s41, s3
	s_lshl_b32 s42, s19, 3
	v_lshlrev_b32_e32 v4, 3, v0
	s_add_u32 s44, s40, 4
	v_add_co_u32_e32 v3, vcc, s2, v4
	s_addc_u32 s45, s41, 0
	s_add_i32 s2, s18, -1
	v_mov_b32_e32 v2, s3
	s_mul_i32 s12, s23, s2
	s_add_i32 s2, s35, 8
	v_addc_co_u32_e32 v5, vcc, 0, v2, vcc
	s_mul_i32 s2, s18, s2
	v_add_co_u32_e32 v2, vcc, 8, v3
	s_add_i32 s2, s2, 0
	v_addc_co_u32_e32 v3, vcc, 0, v5, vcc
	s_mov_b32 s43, s5
	s_mul_i32 s8, s23, s4
	v_mul_lo_u32 v10, v0, s23
	s_mul_i32 s46, s23, s19
	v_add3_u32 v11, s2, v4, -8
	s_xor_b32 s47, s35, -8
	s_branch .LBB45_8
.LBB45_7:                               ;   in Loop: Header=BB45_8 Depth=1
	s_or_b64 exec, exec, s[2:3]
	s_add_i32 s2, s4, -1
	s_add_u32 s38, s38, -8
	s_addc_u32 s39, s39, -1
	v_add_co_u32_e32 v2, vcc, -8, v2
	s_sub_i32 s8, s8, s23
	s_sub_i32 s12, s12, s23
	v_addc_co_u32_e32 v3, vcc, -1, v3, vcc
	v_add_u32_e32 v11, s47, v11
	s_cmp_lt_i32 s4, 1
	s_mov_b32 s4, s2
	s_waitcnt lgkmcnt(0)
	s_barrier
	s_cbranch_scc1 .LBB45_29
.LBB45_8:                               ; =>This Loop Header: Depth=1
                                        ;     Child Loop BB45_12 Depth 2
                                        ;       Child Loop BB45_14 Depth 3
                                        ;     Child Loop BB45_20 Depth 2
                                        ;       Child Loop BB45_22 Depth 3
	;; [unrolled: 2-line block ×3, first 2 shown]
	s_lshl_b32 s2, s4, 3
	s_not_b32 s48, s4
	s_add_i32 s49, s36, s2
	s_mul_i32 s2, s4, s18
	s_add_i32 s48, s48, s18
	s_lshl_b32 s2, s2, 3
	s_add_i32 s50, s4, s37
	s_add_i32 s49, s49, s2
	s_mov_b64 s[14:15], -1
	s_and_b64 vcc, exec, s[10:11]
	v_cmp_gt_i32_e64 s[2:3], s48, v0
	s_cbranch_vccz .LBB45_16
; %bb.9:                                ;   in Loop: Header=BB45_8 Depth=1
	s_and_saveexec_b64 s[14:15], s[2:3]
	s_cbranch_execz .LBB45_15
; %bb.10:                               ;   in Loop: Header=BB45_8 Depth=1
	s_cmp_gt_i32 s50, 0
	s_cselect_b64 s[2:3], -1, 0
	s_lshl_b64 s[16:17], s[4:5], 3
	s_add_u32 s16, s22, s16
	s_addc_u32 s17, s34, s17
	s_load_dwordx2 s[16:17], s[16:17], 0x0
	s_add_i32 s9, s49, 8
	s_mov_b64 s[24:25], 0
	v_pk_mov_b32 v[4:5], v[2:3], v[2:3] op_sel:[0,1]
	v_mov_b32_e32 v8, v0
	s_waitcnt lgkmcnt(0)
	s_mov_b32 s20, s16
	s_mov_b32 s21, s16
	;; [unrolled: 1-line block ×3, first 2 shown]
	s_branch .LBB45_12
.LBB45_11:                              ;   in Loop: Header=BB45_12 Depth=2
	v_lshlrev_b32_e32 v9, 3, v8
	v_add_u32_e32 v14, s9, v9
	ds_read_b64 v[14:15], v14
	v_pk_mul_f32 v[12:13], v[6:7], s[16:17]
	v_pk_fma_f32 v[16:17], v[6:7], s[20:21], v[12:13] op_sel:[0,0,1] op_sel_hi:[1,1,0] neg_lo:[0,0,1] neg_hi:[0,0,1]
	v_pk_fma_f32 v[6:7], v[6:7], s[20:21], v[12:13] op_sel:[0,0,1] op_sel_hi:[1,1,0]
	v_mov_b32_e32 v17, v7
	v_add_u32_e32 v8, s19, v8
	v_add_u32_e32 v9, 0, v9
	s_waitcnt lgkmcnt(0)
	v_pk_add_f32 v[6:7], v[14:15], v[16:17]
	v_cmp_le_i32_e32 vcc, s48, v8
	ds_write_b64 v9, v[6:7]
	v_mov_b32_e32 v6, s43
	s_or_b64 s[24:25], vcc, s[24:25]
	v_add_co_u32_e32 v4, vcc, s42, v4
	v_addc_co_u32_e32 v5, vcc, v5, v6, vcc
	s_andn2_b64 exec, exec, s[24:25]
	s_cbranch_execz .LBB45_15
.LBB45_12:                              ;   Parent Loop BB45_8 Depth=1
                                        ; =>  This Loop Header: Depth=2
                                        ;       Child Loop BB45_14 Depth 3
	v_mov_b32_e32 v7, 0
	s_andn2_b64 vcc, exec, s[2:3]
	v_mov_b32_e32 v6, v7
	s_cbranch_vccnz .LBB45_11
; %bb.13:                               ;   in Loop: Header=BB45_12 Depth=2
	v_mov_b32_e32 v6, 0
	s_mov_b32 s13, 0
	s_mov_b64 s[26:27], 0
	v_mov_b32_e32 v7, v6
.LBB45_14:                              ;   Parent Loop BB45_8 Depth=1
                                        ;     Parent Loop BB45_12 Depth=2
                                        ; =>    This Inner Loop Header: Depth=3
	v_mov_b32_e32 v9, s27
	v_add_co_u32_e32 v12, vcc, s26, v4
	v_addc_co_u32_e32 v13, vcc, v5, v9, vcc
	global_load_dwordx2 v[12:13], v[12:13], off
	s_add_u32 s28, s38, s26
	s_addc_u32 s29, s39, s27
	s_load_dwordx2 s[28:29], s[28:29], 0x0
	s_add_i32 s13, s13, 1
	s_add_u32 s26, s26, s6
	s_addc_u32 s27, s27, s7
	s_cmp_ge_i32 s13, s50
	s_waitcnt vmcnt(0) lgkmcnt(0)
	v_pk_mul_f32 v[14:15], s[28:29], v[12:13] op_sel:[0,1]
	v_pk_fma_f32 v[16:17], s[28:29], v[12:13], v[14:15] op_sel:[0,0,1] op_sel_hi:[1,1,0]
	v_pk_fma_f32 v[12:13], s[28:29], v[12:13], v[14:15] op_sel:[0,0,1] op_sel_hi:[1,0,0] neg_lo:[1,0,0] neg_hi:[1,0,0]
	v_mov_b32_e32 v17, v13
	v_pk_add_f32 v[6:7], v[6:7], v[16:17]
	s_cbranch_scc0 .LBB45_14
	s_branch .LBB45_11
.LBB45_15:                              ;   in Loop: Header=BB45_8 Depth=1
	s_or_b64 exec, exec, s[14:15]
	s_mov_b64 s[14:15], 0
.LBB45_16:                              ;   in Loop: Header=BB45_8 Depth=1
	s_andn2_b64 vcc, exec, s[14:15]
	s_cbranch_vccnz .LBB45_24
; %bb.17:                               ;   in Loop: Header=BB45_8 Depth=1
	v_cmp_gt_i32_e32 vcc, s48, v0
	s_and_saveexec_b64 s[2:3], vcc
	s_cbranch_execz .LBB45_23
; %bb.18:                               ;   in Loop: Header=BB45_8 Depth=1
	s_ashr_i32 s9, s8, 31
	s_lshl_b64 s[14:15], s[8:9], 3
	s_add_u32 s14, s40, s14
	s_addc_u32 s15, s41, s15
	s_ashr_i32 s13, s12, 31
	s_lshl_b64 s[26:27], s[12:13], 3
	s_cmp_gt_i32 s50, 0
	s_cselect_b64 s[16:17], -1, 0
	s_lshl_b64 s[20:21], s[4:5], 3
	s_add_u32 s20, s22, s20
	s_addc_u32 s21, s34, s21
	s_load_dwordx2 s[20:21], s[20:21], 0x0
	s_add_i32 s9, s49, 8
	s_add_u32 s13, s44, s26
	s_addc_u32 s51, s45, s27
	s_mov_b64 s[26:27], 0
	s_waitcnt lgkmcnt(0)
	s_mov_b32 s24, s20
	s_mov_b32 s25, s20
	;; [unrolled: 1-line block ×3, first 2 shown]
	v_mov_b32_e32 v4, v10
	v_mov_b32_e32 v12, v0
	s_branch .LBB45_20
.LBB45_19:                              ;   in Loop: Header=BB45_20 Depth=2
	v_lshlrev_b32_e32 v5, 3, v12
	v_add_u32_e32 v13, s9, v5
	ds_read_b64 v[14:15], v13
	v_pk_mul_f32 v[8:9], v[6:7], s[20:21]
	v_pk_fma_f32 v[16:17], v[6:7], s[24:25], v[8:9] op_sel:[0,0,1] op_sel_hi:[1,1,0] neg_lo:[0,0,1] neg_hi:[0,0,1]
	v_pk_fma_f32 v[6:7], v[6:7], s[24:25], v[8:9] op_sel:[0,0,1] op_sel_hi:[1,1,0]
	v_add_u32_e32 v12, s19, v12
	v_mov_b32_e32 v17, v7
	v_cmp_le_i32_e32 vcc, s48, v12
	v_add_u32_e32 v5, 0, v5
	s_waitcnt lgkmcnt(0)
	v_pk_add_f32 v[6:7], v[14:15], v[16:17]
	s_or_b64 s[26:27], vcc, s[26:27]
	v_add_u32_e32 v4, s46, v4
	ds_write_b64 v5, v[6:7]
	s_andn2_b64 exec, exec, s[26:27]
	s_cbranch_execz .LBB45_23
.LBB45_20:                              ;   Parent Loop BB45_8 Depth=1
                                        ; =>  This Loop Header: Depth=2
                                        ;       Child Loop BB45_22 Depth 3
	v_mov_b32_e32 v7, 0
	s_andn2_b64 vcc, exec, s[16:17]
	v_mov_b32_e32 v6, v7
	s_cbranch_vccnz .LBB45_19
; %bb.21:                               ;   in Loop: Header=BB45_20 Depth=2
	v_ashrrev_i32_e32 v5, 31, v4
	v_lshlrev_b64 v[6:7], 3, v[4:5]
	v_mov_b32_e32 v5, s51
	v_add_co_u32_e32 v8, vcc, s13, v6
	v_mov_b32_e32 v6, 0
	v_addc_co_u32_e32 v9, vcc, v5, v7, vcc
	s_mov_b32 s52, 0
	s_mov_b64 s[28:29], s[14:15]
	v_mov_b32_e32 v7, v6
.LBB45_22:                              ;   Parent Loop BB45_8 Depth=1
                                        ;     Parent Loop BB45_20 Depth=2
                                        ; =>    This Inner Loop Header: Depth=3
	global_load_dwordx2 v[14:15], v[8:9], off offset:-4
	s_load_dwordx2 s[54:55], s[28:29], 0x0
	s_add_i32 s52, s52, 1
	s_add_u32 s28, s28, 8
	v_add_co_u32_e32 v8, vcc, 8, v8
	s_addc_u32 s29, s29, 0
	v_addc_co_u32_e32 v9, vcc, 0, v9, vcc
	s_cmp_ge_i32 s52, s50
	s_waitcnt vmcnt(0) lgkmcnt(0)
	v_pk_mul_f32 v[16:17], v[14:15], s[54:55] op_sel:[1,0]
	v_pk_fma_f32 v[18:19], v[14:15], s[54:55], v[16:17] op_sel:[0,0,1] op_sel_hi:[1,1,0]
	v_pk_fma_f32 v[14:15], v[14:15], s[54:55], v[16:17] op_sel:[0,0,1] op_sel_hi:[0,1,0] neg_lo:[0,0,1] neg_hi:[0,0,1]
	v_mov_b32_e32 v19, v15
	v_pk_add_f32 v[6:7], v[6:7], v[18:19]
	s_cbranch_scc0 .LBB45_22
	s_branch .LBB45_19
.LBB45_23:                              ;   in Loop: Header=BB45_8 Depth=1
	s_or_b64 exec, exec, s[2:3]
.LBB45_24:                              ;   in Loop: Header=BB45_8 Depth=1
	v_cmp_gt_i32_e32 vcc, s48, v0
	s_waitcnt lgkmcnt(0)
	s_barrier
	s_and_saveexec_b64 s[2:3], vcc
	s_cbranch_execz .LBB45_7
; %bb.25:                               ;   in Loop: Header=BB45_8 Depth=1
	s_add_i32 s49, s49, 8
	s_mov_b64 s[14:15], 0
	v_mov_b32_e32 v6, v11
	v_mov_b32_e32 v7, v0
.LBB45_26:                              ;   Parent Loop BB45_8 Depth=1
                                        ; =>  This Loop Header: Depth=2
                                        ;       Child Loop BB45_27 Depth 3
	v_mov_b32_e32 v4, 0
	s_mov_b32 s9, 0
	s_mov_b32 s13, -1
	s_mov_b64 s[16:17], 0
	v_mov_b32_e32 v8, v6
	v_mov_b32_e32 v5, v4
.LBB45_27:                              ;   Parent Loop BB45_8 Depth=1
                                        ;     Parent Loop BB45_26 Depth=2
                                        ; =>    This Inner Loop Header: Depth=3
	v_mov_b32_e32 v9, s9
	ds_read_b64 v[12:13], v8
	ds_read_b64 v[14:15], v9
	s_add_i32 s13, s13, 1
	s_add_i32 s9, s9, 8
	v_cmp_eq_u32_e32 vcc, s13, v7
	v_add_u32_e32 v8, s35, v8
	s_waitcnt lgkmcnt(0)
	v_pk_mul_f32 v[16:17], v[14:15], v[12:13] op_sel:[0,1]
	v_pk_fma_f32 v[18:19], v[14:15], v[12:13], v[16:17] op_sel:[0,0,1] op_sel_hi:[1,1,0] neg_lo:[0,0,1] neg_hi:[0,0,1]
	v_pk_fma_f32 v[12:13], v[14:15], v[12:13], v[16:17] op_sel:[0,0,1] op_sel_hi:[1,0,0]
	v_mov_b32_e32 v19, v13
	s_or_b64 s[16:17], vcc, s[16:17]
	v_pk_add_f32 v[4:5], v[4:5], v[18:19]
	s_andn2_b64 exec, exec, s[16:17]
	s_cbranch_execnz .LBB45_27
; %bb.28:                               ;   in Loop: Header=BB45_26 Depth=2
	s_or_b64 exec, exec, s[16:17]
	v_lshl_add_u32 v8, v7, 3, s49
	v_add_u32_e32 v7, s19, v7
	v_cmp_le_i32_e32 vcc, s48, v7
	s_or_b64 s[14:15], vcc, s[14:15]
	v_add_u32_e32 v6, s42, v6
	ds_write_b64 v8, v[4:5]
	s_andn2_b64 exec, exec, s[14:15]
	s_cbranch_execnz .LBB45_26
	s_branch .LBB45_7
.LBB45_29:
	s_and_saveexec_b64 s[2:3], s[0:1]
	s_cbranch_execz .LBB45_34
; %bb.30:
	s_lshl_b32 s6, s18, 3
	s_add_i32 s0, s6, 0
	v_lshl_add_u32 v4, v0, 3, s0
	s_lshl_b32 s7, s19, 3
	s_mov_b64 s[2:3], 0
	v_mov_b32_e32 v5, s33
.LBB45_31:                              ; =>This Loop Header: Depth=1
                                        ;     Child Loop BB45_32 Depth 2
	s_mov_b64 s[4:5], 0
	v_mov_b32_e32 v6, v4
	v_mov_b32_e32 v2, v0
	s_mov_b32 s8, 0
.LBB45_32:                              ;   Parent Loop BB45_31 Depth=1
                                        ; =>  This Inner Loop Header: Depth=2
	ds_read_b64 v[8:9], v6
	v_ashrrev_i32_e32 v3, 31, v2
	s_add_i32 s8, s8, 1
	v_lshlrev_b64 v[10:11], 3, v[2:3]
	v_cmp_eq_u32_e32 vcc, s8, v1
	v_add_co_u32_e64 v10, s[0:1], s31, v10
	v_add_u32_e32 v6, s6, v6
	v_add_u32_e32 v2, s30, v2
	v_addc_co_u32_e64 v11, s[0:1], v5, v11, s[0:1]
	s_or_b64 s[4:5], vcc, s[4:5]
	s_waitcnt lgkmcnt(0)
	global_store_dwordx2 v[10:11], v[8:9], off
	s_andn2_b64 exec, exec, s[4:5]
	s_cbranch_execnz .LBB45_32
; %bb.33:                               ;   in Loop: Header=BB45_31 Depth=1
	s_or_b64 exec, exec, s[4:5]
	v_add_u32_e32 v0, s19, v0
	v_cmp_le_i32_e32 vcc, s18, v0
	v_add_u32_e32 v1, s19, v1
	s_or_b64 s[2:3], vcc, s[2:3]
	v_add_u32_e32 v4, s7, v4
	s_andn2_b64 exec, exec, s[2:3]
	s_cbranch_execnz .LBB45_31
.LBB45_34:
	s_endpgm
	.section	.rodata,"a",@progbits
	.p2align	6, 0x0
	.amdhsa_kernel _ZN9rocsolver6v33100L21larft_kernel_backwardI19rocblas_complex_numIfEPS3_EEv15rocblas_storev_iiT0_iilPT_lS8_il
		.amdhsa_group_segment_fixed_size 0
		.amdhsa_private_segment_fixed_size 0
		.amdhsa_kernarg_size 336
		.amdhsa_user_sgpr_count 6
		.amdhsa_user_sgpr_private_segment_buffer 1
		.amdhsa_user_sgpr_dispatch_ptr 0
		.amdhsa_user_sgpr_queue_ptr 0
		.amdhsa_user_sgpr_kernarg_segment_ptr 1
		.amdhsa_user_sgpr_dispatch_id 0
		.amdhsa_user_sgpr_flat_scratch_init 0
		.amdhsa_user_sgpr_kernarg_preload_length 0
		.amdhsa_user_sgpr_kernarg_preload_offset 0
		.amdhsa_user_sgpr_private_segment_size 0
		.amdhsa_uses_dynamic_stack 0
		.amdhsa_system_sgpr_private_segment_wavefront_offset 0
		.amdhsa_system_sgpr_workgroup_id_x 1
		.amdhsa_system_sgpr_workgroup_id_y 1
		.amdhsa_system_sgpr_workgroup_id_z 0
		.amdhsa_system_sgpr_workgroup_info 0
		.amdhsa_system_vgpr_workitem_id 0
		.amdhsa_next_free_vgpr 20
		.amdhsa_next_free_sgpr 56
		.amdhsa_accum_offset 20
		.amdhsa_reserve_vcc 1
		.amdhsa_reserve_flat_scratch 0
		.amdhsa_float_round_mode_32 0
		.amdhsa_float_round_mode_16_64 0
		.amdhsa_float_denorm_mode_32 3
		.amdhsa_float_denorm_mode_16_64 3
		.amdhsa_dx10_clamp 1
		.amdhsa_ieee_mode 1
		.amdhsa_fp16_overflow 0
		.amdhsa_tg_split 0
		.amdhsa_exception_fp_ieee_invalid_op 0
		.amdhsa_exception_fp_denorm_src 0
		.amdhsa_exception_fp_ieee_div_zero 0
		.amdhsa_exception_fp_ieee_overflow 0
		.amdhsa_exception_fp_ieee_underflow 0
		.amdhsa_exception_fp_ieee_inexact 0
		.amdhsa_exception_int_div_zero 0
	.end_amdhsa_kernel
	.section	.text._ZN9rocsolver6v33100L21larft_kernel_backwardI19rocblas_complex_numIfEPS3_EEv15rocblas_storev_iiT0_iilPT_lS8_il,"axG",@progbits,_ZN9rocsolver6v33100L21larft_kernel_backwardI19rocblas_complex_numIfEPS3_EEv15rocblas_storev_iiT0_iilPT_lS8_il,comdat
.Lfunc_end45:
	.size	_ZN9rocsolver6v33100L21larft_kernel_backwardI19rocblas_complex_numIfEPS3_EEv15rocblas_storev_iiT0_iilPT_lS8_il, .Lfunc_end45-_ZN9rocsolver6v33100L21larft_kernel_backwardI19rocblas_complex_numIfEPS3_EEv15rocblas_storev_iiT0_iilPT_lS8_il
                                        ; -- End function
	.section	.AMDGPU.csdata,"",@progbits
; Kernel info:
; codeLenInByte = 1688
; NumSgprs: 60
; NumVgprs: 20
; NumAgprs: 0
; TotalNumVgprs: 20
; ScratchSize: 0
; MemoryBound: 0
; FloatMode: 240
; IeeeMode: 1
; LDSByteSize: 0 bytes/workgroup (compile time only)
; SGPRBlocks: 7
; VGPRBlocks: 2
; NumSGPRsForWavesPerEU: 60
; NumVGPRsForWavesPerEU: 20
; AccumOffset: 20
; Occupancy: 8
; WaveLimiterHint : 0
; COMPUTE_PGM_RSRC2:SCRATCH_EN: 0
; COMPUTE_PGM_RSRC2:USER_SGPR: 6
; COMPUTE_PGM_RSRC2:TRAP_HANDLER: 0
; COMPUTE_PGM_RSRC2:TGID_X_EN: 1
; COMPUTE_PGM_RSRC2:TGID_Y_EN: 1
; COMPUTE_PGM_RSRC2:TGID_Z_EN: 0
; COMPUTE_PGM_RSRC2:TIDIG_COMP_CNT: 0
; COMPUTE_PGM_RSRC3_GFX90A:ACCUM_OFFSET: 4
; COMPUTE_PGM_RSRC3_GFX90A:TG_SPLIT: 0
	.section	.text._ZN9rocsolver6v33100L9copymatA1I19rocblas_complex_numIfEPS3_EEviiT0_iilPT_,"axG",@progbits,_ZN9rocsolver6v33100L9copymatA1I19rocblas_complex_numIfEPS3_EEviiT0_iilPT_,comdat
	.globl	_ZN9rocsolver6v33100L9copymatA1I19rocblas_complex_numIfEPS3_EEviiT0_iilPT_ ; -- Begin function _ZN9rocsolver6v33100L9copymatA1I19rocblas_complex_numIfEPS3_EEviiT0_iilPT_
	.p2align	8
	.type	_ZN9rocsolver6v33100L9copymatA1I19rocblas_complex_numIfEPS3_EEviiT0_iilPT_,@function
_ZN9rocsolver6v33100L9copymatA1I19rocblas_complex_numIfEPS3_EEviiT0_iilPT_: ; @_ZN9rocsolver6v33100L9copymatA1I19rocblas_complex_numIfEPS3_EEviiT0_iilPT_
; %bb.0:
	s_load_dword s0, s[4:5], 0x34
	s_load_dwordx2 s[2:3], s[4:5], 0x0
	v_and_b32_e32 v1, 0x3ff, v0
	v_bfe_u32 v0, v0, 10, 10
	s_waitcnt lgkmcnt(0)
	s_lshr_b32 s1, s0, 16
	s_and_b32 s0, s0, 0xffff
	s_mul_i32 s6, s6, s0
	s_mul_i32 s7, s7, s1
	v_add_u32_e32 v1, s6, v1
	v_add_u32_e32 v0, s7, v0
	v_cmp_gt_u32_e32 vcc, s2, v0
	v_cmp_gt_u32_e64 s[0:1], s3, v1
	s_and_b64 s[0:1], s[0:1], vcc
	s_and_saveexec_b64 s[6:7], s[0:1]
	s_cbranch_execz .LBB46_2
; %bb.1:
	s_ashr_i32 s0, s2, 31
	s_load_dwordx8 s[12:19], s[4:5], 0x8
	s_mul_hi_u32 s4, s2, s8
	s_mul_i32 s0, s0, s8
	s_ashr_i32 s1, s3, 31
	s_add_i32 s0, s4, s0
	s_mul_i32 s4, s2, s8
	s_mul_i32 s1, s4, s1
	s_mul_hi_u32 s5, s4, s3
	s_add_i32 s1, s5, s1
	s_mul_i32 s0, s0, s3
	s_add_i32 s1, s1, s0
	s_mul_i32 s0, s4, s3
	s_lshl_b64 s[0:1], s[0:1], 3
	s_waitcnt lgkmcnt(0)
	s_add_u32 s3, s18, s0
	s_mul_i32 s4, s8, s17
	s_mul_hi_u32 s5, s8, s16
	s_addc_u32 s6, s19, s1
	s_add_i32 s5, s5, s4
	s_mul_i32 s4, s8, s16
	s_ashr_i32 s1, s14, 31
	s_lshl_b64 s[4:5], s[4:5], 3
	s_mov_b32 s0, s14
	s_add_u32 s4, s12, s4
	s_addc_u32 s5, s13, s5
	s_lshl_b64 s[0:1], s[0:1], 3
	s_add_u32 s4, s4, s0
	s_addc_u32 s5, s5, s1
	v_mad_u64_u32 v[2:3], s[0:1], v1, s15, v[0:1]
	v_mov_b32_e32 v3, 0
	v_lshlrev_b64 v[4:5], 3, v[2:3]
	v_mov_b32_e32 v2, s5
	v_add_co_u32_e32 v4, vcc, s4, v4
	v_addc_co_u32_e32 v5, vcc, v2, v5, vcc
	global_load_dwordx2 v[4:5], v[4:5], off
	v_mad_u64_u32 v[0:1], s[0:1], v1, s2, v[0:1]
	v_mov_b32_e32 v1, v3
	v_lshlrev_b64 v[0:1], 3, v[0:1]
	v_mov_b32_e32 v2, s6
	v_add_co_u32_e32 v0, vcc, s3, v0
	v_addc_co_u32_e32 v1, vcc, v2, v1, vcc
	s_waitcnt vmcnt(0)
	global_store_dwordx2 v[0:1], v[4:5], off
.LBB46_2:
	s_endpgm
	.section	.rodata,"a",@progbits
	.p2align	6, 0x0
	.amdhsa_kernel _ZN9rocsolver6v33100L9copymatA1I19rocblas_complex_numIfEPS3_EEviiT0_iilPT_
		.amdhsa_group_segment_fixed_size 0
		.amdhsa_private_segment_fixed_size 0
		.amdhsa_kernarg_size 296
		.amdhsa_user_sgpr_count 6
		.amdhsa_user_sgpr_private_segment_buffer 1
		.amdhsa_user_sgpr_dispatch_ptr 0
		.amdhsa_user_sgpr_queue_ptr 0
		.amdhsa_user_sgpr_kernarg_segment_ptr 1
		.amdhsa_user_sgpr_dispatch_id 0
		.amdhsa_user_sgpr_flat_scratch_init 0
		.amdhsa_user_sgpr_kernarg_preload_length 0
		.amdhsa_user_sgpr_kernarg_preload_offset 0
		.amdhsa_user_sgpr_private_segment_size 0
		.amdhsa_uses_dynamic_stack 0
		.amdhsa_system_sgpr_private_segment_wavefront_offset 0
		.amdhsa_system_sgpr_workgroup_id_x 1
		.amdhsa_system_sgpr_workgroup_id_y 1
		.amdhsa_system_sgpr_workgroup_id_z 1
		.amdhsa_system_sgpr_workgroup_info 0
		.amdhsa_system_vgpr_workitem_id 1
		.amdhsa_next_free_vgpr 6
		.amdhsa_next_free_sgpr 20
		.amdhsa_accum_offset 8
		.amdhsa_reserve_vcc 1
		.amdhsa_reserve_flat_scratch 0
		.amdhsa_float_round_mode_32 0
		.amdhsa_float_round_mode_16_64 0
		.amdhsa_float_denorm_mode_32 3
		.amdhsa_float_denorm_mode_16_64 3
		.amdhsa_dx10_clamp 1
		.amdhsa_ieee_mode 1
		.amdhsa_fp16_overflow 0
		.amdhsa_tg_split 0
		.amdhsa_exception_fp_ieee_invalid_op 0
		.amdhsa_exception_fp_denorm_src 0
		.amdhsa_exception_fp_ieee_div_zero 0
		.amdhsa_exception_fp_ieee_overflow 0
		.amdhsa_exception_fp_ieee_underflow 0
		.amdhsa_exception_fp_ieee_inexact 0
		.amdhsa_exception_int_div_zero 0
	.end_amdhsa_kernel
	.section	.text._ZN9rocsolver6v33100L9copymatA1I19rocblas_complex_numIfEPS3_EEviiT0_iilPT_,"axG",@progbits,_ZN9rocsolver6v33100L9copymatA1I19rocblas_complex_numIfEPS3_EEviiT0_iilPT_,comdat
.Lfunc_end46:
	.size	_ZN9rocsolver6v33100L9copymatA1I19rocblas_complex_numIfEPS3_EEviiT0_iilPT_, .Lfunc_end46-_ZN9rocsolver6v33100L9copymatA1I19rocblas_complex_numIfEPS3_EEviiT0_iilPT_
                                        ; -- End function
	.section	.AMDGPU.csdata,"",@progbits
; Kernel info:
; codeLenInByte = 296
; NumSgprs: 24
; NumVgprs: 6
; NumAgprs: 0
; TotalNumVgprs: 6
; ScratchSize: 0
; MemoryBound: 0
; FloatMode: 240
; IeeeMode: 1
; LDSByteSize: 0 bytes/workgroup (compile time only)
; SGPRBlocks: 2
; VGPRBlocks: 0
; NumSGPRsForWavesPerEU: 24
; NumVGPRsForWavesPerEU: 6
; AccumOffset: 8
; Occupancy: 8
; WaveLimiterHint : 0
; COMPUTE_PGM_RSRC2:SCRATCH_EN: 0
; COMPUTE_PGM_RSRC2:USER_SGPR: 6
; COMPUTE_PGM_RSRC2:TRAP_HANDLER: 0
; COMPUTE_PGM_RSRC2:TGID_X_EN: 1
; COMPUTE_PGM_RSRC2:TGID_Y_EN: 1
; COMPUTE_PGM_RSRC2:TGID_Z_EN: 1
; COMPUTE_PGM_RSRC2:TIDIG_COMP_CNT: 1
; COMPUTE_PGM_RSRC3_GFX90A:ACCUM_OFFSET: 1
; COMPUTE_PGM_RSRC3_GFX90A:TG_SPLIT: 0
	.section	.text._ZN9rocsolver6v33100L8addmatA1I19rocblas_complex_numIfEPS3_EEviiT0_iilPT_,"axG",@progbits,_ZN9rocsolver6v33100L8addmatA1I19rocblas_complex_numIfEPS3_EEviiT0_iilPT_,comdat
	.globl	_ZN9rocsolver6v33100L8addmatA1I19rocblas_complex_numIfEPS3_EEviiT0_iilPT_ ; -- Begin function _ZN9rocsolver6v33100L8addmatA1I19rocblas_complex_numIfEPS3_EEviiT0_iilPT_
	.p2align	8
	.type	_ZN9rocsolver6v33100L8addmatA1I19rocblas_complex_numIfEPS3_EEviiT0_iilPT_,@function
_ZN9rocsolver6v33100L8addmatA1I19rocblas_complex_numIfEPS3_EEviiT0_iilPT_: ; @_ZN9rocsolver6v33100L8addmatA1I19rocblas_complex_numIfEPS3_EEviiT0_iilPT_
; %bb.0:
	s_load_dword s0, s[4:5], 0x34
	s_load_dwordx2 s[10:11], s[4:5], 0x0
	v_and_b32_e32 v1, 0x3ff, v0
	v_bfe_u32 v0, v0, 10, 10
	s_waitcnt lgkmcnt(0)
	s_lshr_b32 s1, s0, 16
	s_and_b32 s0, s0, 0xffff
	s_mul_i32 s6, s6, s0
	s_mul_i32 s7, s7, s1
	v_add_u32_e32 v1, s6, v1
	v_add_u32_e32 v0, s7, v0
	v_cmp_gt_u32_e32 vcc, s10, v0
	v_cmp_gt_u32_e64 s[0:1], s11, v1
	s_and_b64 s[0:1], s[0:1], vcc
	s_and_saveexec_b64 s[2:3], s[0:1]
	s_cbranch_execz .LBB47_2
; %bb.1:
	s_ashr_i32 s9, s10, 31
	s_load_dwordx8 s[0:7], s[4:5], 0x8
	s_ashr_i32 s12, s11, 31
	s_mul_hi_u32 s13, s10, s8
	s_mul_i32 s9, s9, s8
	s_mul_i32 s14, s10, s8
	s_add_i32 s9, s13, s9
	s_mul_i32 s12, s14, s12
	s_mul_hi_u32 s13, s14, s11
	s_add_i32 s12, s13, s12
	s_mul_i32 s9, s9, s11
	s_add_i32 s13, s12, s9
	s_mul_i32 s12, s14, s11
	s_lshl_b64 s[12:13], s[12:13], 3
	s_waitcnt lgkmcnt(0)
	s_add_u32 s9, s6, s12
	s_addc_u32 s11, s7, s13
	s_ashr_i32 s7, s2, 31
	s_mov_b32 s6, s2
	s_mul_i32 s2, s8, s5
	s_mul_hi_u32 s5, s8, s4
	s_add_i32 s5, s5, s2
	s_mul_i32 s4, s8, s4
	s_lshl_b64 s[4:5], s[4:5], 3
	s_add_u32 s2, s0, s4
	s_addc_u32 s4, s1, s5
	s_lshl_b64 s[0:1], s[6:7], 3
	s_add_u32 s2, s2, s0
	s_addc_u32 s4, s4, s1
	v_mad_u64_u32 v[2:3], s[0:1], v1, s10, v[0:1]
	v_mov_b32_e32 v3, 0
	v_lshlrev_b64 v[4:5], 3, v[2:3]
	v_mad_u64_u32 v[0:1], s[0:1], v1, s3, v[0:1]
	v_mov_b32_e32 v2, s11
	v_add_co_u32_e32 v4, vcc, s9, v4
	v_mov_b32_e32 v1, v3
	v_addc_co_u32_e32 v5, vcc, v2, v5, vcc
	v_lshlrev_b64 v[0:1], 3, v[0:1]
	v_mov_b32_e32 v2, s4
	v_add_co_u32_e32 v0, vcc, s2, v0
	v_addc_co_u32_e32 v1, vcc, v2, v1, vcc
	global_load_dwordx2 v[2:3], v[4:5], off
	global_load_dwordx2 v[6:7], v[0:1], off
	s_waitcnt vmcnt(0)
	v_pk_add_f32 v[2:3], v[6:7], v[2:3] neg_lo:[0,1] neg_hi:[0,1]
	global_store_dwordx2 v[0:1], v[2:3], off
.LBB47_2:
	s_endpgm
	.section	.rodata,"a",@progbits
	.p2align	6, 0x0
	.amdhsa_kernel _ZN9rocsolver6v33100L8addmatA1I19rocblas_complex_numIfEPS3_EEviiT0_iilPT_
		.amdhsa_group_segment_fixed_size 0
		.amdhsa_private_segment_fixed_size 0
		.amdhsa_kernarg_size 296
		.amdhsa_user_sgpr_count 6
		.amdhsa_user_sgpr_private_segment_buffer 1
		.amdhsa_user_sgpr_dispatch_ptr 0
		.amdhsa_user_sgpr_queue_ptr 0
		.amdhsa_user_sgpr_kernarg_segment_ptr 1
		.amdhsa_user_sgpr_dispatch_id 0
		.amdhsa_user_sgpr_flat_scratch_init 0
		.amdhsa_user_sgpr_kernarg_preload_length 0
		.amdhsa_user_sgpr_kernarg_preload_offset 0
		.amdhsa_user_sgpr_private_segment_size 0
		.amdhsa_uses_dynamic_stack 0
		.amdhsa_system_sgpr_private_segment_wavefront_offset 0
		.amdhsa_system_sgpr_workgroup_id_x 1
		.amdhsa_system_sgpr_workgroup_id_y 1
		.amdhsa_system_sgpr_workgroup_id_z 1
		.amdhsa_system_sgpr_workgroup_info 0
		.amdhsa_system_vgpr_workitem_id 1
		.amdhsa_next_free_vgpr 8
		.amdhsa_next_free_sgpr 15
		.amdhsa_accum_offset 8
		.amdhsa_reserve_vcc 1
		.amdhsa_reserve_flat_scratch 0
		.amdhsa_float_round_mode_32 0
		.amdhsa_float_round_mode_16_64 0
		.amdhsa_float_denorm_mode_32 3
		.amdhsa_float_denorm_mode_16_64 3
		.amdhsa_dx10_clamp 1
		.amdhsa_ieee_mode 1
		.amdhsa_fp16_overflow 0
		.amdhsa_tg_split 0
		.amdhsa_exception_fp_ieee_invalid_op 0
		.amdhsa_exception_fp_denorm_src 0
		.amdhsa_exception_fp_ieee_div_zero 0
		.amdhsa_exception_fp_ieee_overflow 0
		.amdhsa_exception_fp_ieee_underflow 0
		.amdhsa_exception_fp_ieee_inexact 0
		.amdhsa_exception_int_div_zero 0
	.end_amdhsa_kernel
	.section	.text._ZN9rocsolver6v33100L8addmatA1I19rocblas_complex_numIfEPS3_EEviiT0_iilPT_,"axG",@progbits,_ZN9rocsolver6v33100L8addmatA1I19rocblas_complex_numIfEPS3_EEviiT0_iilPT_,comdat
.Lfunc_end47:
	.size	_ZN9rocsolver6v33100L8addmatA1I19rocblas_complex_numIfEPS3_EEviiT0_iilPT_, .Lfunc_end47-_ZN9rocsolver6v33100L8addmatA1I19rocblas_complex_numIfEPS3_EEviiT0_iilPT_
                                        ; -- End function
	.section	.AMDGPU.csdata,"",@progbits
; Kernel info:
; codeLenInByte = 312
; NumSgprs: 19
; NumVgprs: 8
; NumAgprs: 0
; TotalNumVgprs: 8
; ScratchSize: 0
; MemoryBound: 0
; FloatMode: 240
; IeeeMode: 1
; LDSByteSize: 0 bytes/workgroup (compile time only)
; SGPRBlocks: 2
; VGPRBlocks: 0
; NumSGPRsForWavesPerEU: 19
; NumVGPRsForWavesPerEU: 8
; AccumOffset: 8
; Occupancy: 8
; WaveLimiterHint : 0
; COMPUTE_PGM_RSRC2:SCRATCH_EN: 0
; COMPUTE_PGM_RSRC2:USER_SGPR: 6
; COMPUTE_PGM_RSRC2:TRAP_HANDLER: 0
; COMPUTE_PGM_RSRC2:TGID_X_EN: 1
; COMPUTE_PGM_RSRC2:TGID_Y_EN: 1
; COMPUTE_PGM_RSRC2:TGID_Z_EN: 1
; COMPUTE_PGM_RSRC2:TIDIG_COMP_CNT: 1
; COMPUTE_PGM_RSRC3_GFX90A:ACCUM_OFFSET: 1
; COMPUTE_PGM_RSRC3_GFX90A:TG_SPLIT: 0
	.section	.text._ZN9rocsolver6v33100L15copyshift_rightI19rocblas_complex_numIfEPS3_EEvbiT0_iilPT_iil,"axG",@progbits,_ZN9rocsolver6v33100L15copyshift_rightI19rocblas_complex_numIfEPS3_EEvbiT0_iilPT_iil,comdat
	.globl	_ZN9rocsolver6v33100L15copyshift_rightI19rocblas_complex_numIfEPS3_EEvbiT0_iilPT_iil ; -- Begin function _ZN9rocsolver6v33100L15copyshift_rightI19rocblas_complex_numIfEPS3_EEvbiT0_iilPT_iil
	.p2align	8
	.type	_ZN9rocsolver6v33100L15copyshift_rightI19rocblas_complex_numIfEPS3_EEvbiT0_iilPT_iil,@function
_ZN9rocsolver6v33100L15copyshift_rightI19rocblas_complex_numIfEPS3_EEvbiT0_iilPT_iil: ; @_ZN9rocsolver6v33100L15copyshift_rightI19rocblas_complex_numIfEPS3_EEvbiT0_iilPT_iil
; %bb.0:
	s_load_dwordx4 s[0:3], s[4:5], 0x0
	s_load_dwordx4 s[12:15], s[4:5], 0x18
	s_load_dword s9, s[4:5], 0x44
	s_load_dwordx2 s[10:11], s[4:5], 0x10
	v_and_b32_e32 v1, 0x3ff, v0
	s_waitcnt lgkmcnt(0)
	s_bitcmp1_b32 s0, 0
	s_cselect_b64 s[16:17], -1, 0
	s_and_b32 s0, s9, 0xffff
	s_lshr_b32 s9, s9, 16
	s_mul_i32 s7, s7, s9
	s_mul_i32 s6, s6, s0
	;; [unrolled: 1-line block ×3, first 2 shown]
	s_mul_hi_u32 s9, s8, s12
	v_bfe_u32 v0, v0, 10, 10
	s_add_i32 s13, s9, s0
	s_mul_i32 s12, s8, s12
	s_xor_b64 s[16:17], s[16:17], -1
	v_add_u32_e32 v0, s7, v0
	s_ashr_i32 s7, s10, 31
	s_lshl_b64 s[12:13], s[12:13], 3
	v_add_u32_e32 v2, s6, v1
	s_mov_b32 s6, s10
	s_add_u32 s0, s2, s12
	s_addc_u32 s9, s3, s13
	s_lshl_b64 s[2:3], s[6:7], 3
	v_or_b32_e32 v1, v2, v0
	s_add_u32 s6, s0, s2
	v_cmp_eq_u32_e32 vcc, 0, v1
	s_addc_u32 s7, s9, s3
	s_and_b64 s[12:13], vcc, s[16:17]
	s_and_saveexec_b64 s[2:3], s[12:13]
	s_cbranch_execz .LBB48_2
; %bb.1:
	v_mov_b32_e32 v4, 1.0
	v_mov_b32_e32 v5, 0
	global_store_dwordx2 v5, v[4:5], s[6:7]
.LBB48_2:
	s_or_b64 exec, exec, s[2:3]
	v_max_u32_e32 v1, v0, v2
	v_cmp_gt_u32_e32 vcc, s1, v1
	v_cmp_le_u32_e64 s[0:1], v0, v2
	s_and_b64 s[0:1], s[0:1], vcc
	s_and_saveexec_b64 s[2:3], s[0:1]
	s_cbranch_execz .LBB48_11
; %bb.3:
	s_load_dwordx4 s[0:3], s[4:5], 0x28
	s_waitcnt lgkmcnt(0)
	s_ashr_i32 s5, s0, 31
	s_mov_b32 s4, s0
	s_mul_i32 s0, s8, s3
	s_mul_hi_u32 s3, s8, s2
	s_mul_i32 s2, s8, s2
	s_add_i32 s3, s3, s0
	s_lshl_b64 s[2:3], s[2:3], 3
	s_add_u32 s0, s14, s2
	s_addc_u32 s8, s15, s3
	s_lshl_b64 s[2:3], s[4:5], 3
	s_add_u32 s0, s0, s2
	s_addc_u32 s4, s8, s3
	v_mad_u64_u32 v[4:5], s[2:3], v0, v0, v[0:1]
	v_lshrrev_b32_e32 v3, 1, v4
	s_mov_b64 s[2:3], -1
	s_and_b64 vcc, exec, s[16:17]
	s_cbranch_vccz .LBB48_7
; %bb.4:
	v_mad_u64_u32 v[4:5], s[2:3], v0, s1, v[2:3]
	v_sub_u32_e32 v4, v4, v3
	v_mov_b32_e32 v5, 0
	v_lshlrev_b64 v[6:7], 3, v[4:5]
	v_mov_b32_e32 v1, s4
	v_add_co_u32_e32 v6, vcc, s0, v6
	v_addc_co_u32_e32 v7, vcc, v1, v7, vcc
	global_load_dwordx2 v[6:7], v[6:7], off
	v_mul_lo_u32 v1, v0, s11
	v_add3_u32 v4, v2, v1, 1
	v_lshlrev_b64 v[8:9], 3, v[4:5]
	v_mov_b32_e32 v10, s7
	v_add_co_u32_e32 v8, vcc, s6, v8
	v_addc_co_u32_e32 v9, vcc, v10, v9, vcc
	v_cmp_eq_u32_e32 vcc, v2, v0
	s_waitcnt vmcnt(0)
	global_store_dwordx2 v[8:9], v[6:7], off
	s_and_saveexec_b64 s[2:3], vcc
	s_cbranch_execz .LBB48_6
; %bb.5:
	v_add_u32_e32 v4, s11, v1
	v_lshlrev_b64 v[6:7], 3, v[4:5]
	v_mov_b32_e32 v1, s7
	v_add_co_u32_e32 v6, vcc, s6, v6
	v_addc_co_u32_e32 v7, vcc, v1, v7, vcc
	v_mov_b32_e32 v4, v5
	global_store_dwordx2 v[6:7], v[4:5], off
.LBB48_6:
	s_or_b64 exec, exec, s[2:3]
	s_mov_b64 s[2:3], 0
.LBB48_7:
	s_andn2_b64 vcc, exec, s[2:3]
	s_cbranch_vccnz .LBB48_11
; %bb.8:
	v_cmp_ne_u32_e32 vcc, 0, v0
	v_mov_b32_e32 v1, 0
	v_mov_b32_e32 v4, 0
	;; [unrolled: 1-line block ×3, first 2 shown]
	s_and_saveexec_b64 s[2:3], vcc
	s_cbranch_execz .LBB48_10
; %bb.9:
	v_add_u32_e32 v4, -1, v0
	v_mul_lo_u32 v4, v4, s11
	v_add3_u32 v4, v2, v4, 1
	v_mov_b32_e32 v5, 0
	v_lshlrev_b64 v[4:5], 3, v[4:5]
	v_mov_b32_e32 v6, s7
	v_add_co_u32_e32 v4, vcc, s6, v4
	v_addc_co_u32_e32 v5, vcc, v6, v5, vcc
	global_load_dwordx2 v[4:5], v[4:5], off
.LBB48_10:
	s_or_b64 exec, exec, s[2:3]
	v_mad_u64_u32 v[6:7], s[2:3], v0, s1, v[2:3]
	v_sub_u32_e32 v0, v6, v3
	v_lshlrev_b64 v[0:1], 3, v[0:1]
	v_mov_b32_e32 v2, s4
	v_add_co_u32_e32 v0, vcc, s0, v0
	v_addc_co_u32_e32 v1, vcc, v2, v1, vcc
	s_waitcnt vmcnt(0)
	global_store_dwordx2 v[0:1], v[4:5], off
.LBB48_11:
	s_endpgm
	.section	.rodata,"a",@progbits
	.p2align	6, 0x0
	.amdhsa_kernel _ZN9rocsolver6v33100L15copyshift_rightI19rocblas_complex_numIfEPS3_EEvbiT0_iilPT_iil
		.amdhsa_group_segment_fixed_size 0
		.amdhsa_private_segment_fixed_size 0
		.amdhsa_kernarg_size 312
		.amdhsa_user_sgpr_count 6
		.amdhsa_user_sgpr_private_segment_buffer 1
		.amdhsa_user_sgpr_dispatch_ptr 0
		.amdhsa_user_sgpr_queue_ptr 0
		.amdhsa_user_sgpr_kernarg_segment_ptr 1
		.amdhsa_user_sgpr_dispatch_id 0
		.amdhsa_user_sgpr_flat_scratch_init 0
		.amdhsa_user_sgpr_kernarg_preload_length 0
		.amdhsa_user_sgpr_kernarg_preload_offset 0
		.amdhsa_user_sgpr_private_segment_size 0
		.amdhsa_uses_dynamic_stack 0
		.amdhsa_system_sgpr_private_segment_wavefront_offset 0
		.amdhsa_system_sgpr_workgroup_id_x 1
		.amdhsa_system_sgpr_workgroup_id_y 1
		.amdhsa_system_sgpr_workgroup_id_z 1
		.amdhsa_system_sgpr_workgroup_info 0
		.amdhsa_system_vgpr_workitem_id 1
		.amdhsa_next_free_vgpr 11
		.amdhsa_next_free_sgpr 18
		.amdhsa_accum_offset 12
		.amdhsa_reserve_vcc 1
		.amdhsa_reserve_flat_scratch 0
		.amdhsa_float_round_mode_32 0
		.amdhsa_float_round_mode_16_64 0
		.amdhsa_float_denorm_mode_32 3
		.amdhsa_float_denorm_mode_16_64 3
		.amdhsa_dx10_clamp 1
		.amdhsa_ieee_mode 1
		.amdhsa_fp16_overflow 0
		.amdhsa_tg_split 0
		.amdhsa_exception_fp_ieee_invalid_op 0
		.amdhsa_exception_fp_denorm_src 0
		.amdhsa_exception_fp_ieee_div_zero 0
		.amdhsa_exception_fp_ieee_overflow 0
		.amdhsa_exception_fp_ieee_underflow 0
		.amdhsa_exception_fp_ieee_inexact 0
		.amdhsa_exception_int_div_zero 0
	.end_amdhsa_kernel
	.section	.text._ZN9rocsolver6v33100L15copyshift_rightI19rocblas_complex_numIfEPS3_EEvbiT0_iilPT_iil,"axG",@progbits,_ZN9rocsolver6v33100L15copyshift_rightI19rocblas_complex_numIfEPS3_EEvbiT0_iilPT_iil,comdat
.Lfunc_end48:
	.size	_ZN9rocsolver6v33100L15copyshift_rightI19rocblas_complex_numIfEPS3_EEvbiT0_iilPT_iil, .Lfunc_end48-_ZN9rocsolver6v33100L15copyshift_rightI19rocblas_complex_numIfEPS3_EEvbiT0_iilPT_iil
                                        ; -- End function
	.section	.AMDGPU.csdata,"",@progbits
; Kernel info:
; codeLenInByte = 576
; NumSgprs: 22
; NumVgprs: 11
; NumAgprs: 0
; TotalNumVgprs: 11
; ScratchSize: 0
; MemoryBound: 0
; FloatMode: 240
; IeeeMode: 1
; LDSByteSize: 0 bytes/workgroup (compile time only)
; SGPRBlocks: 2
; VGPRBlocks: 1
; NumSGPRsForWavesPerEU: 22
; NumVGPRsForWavesPerEU: 11
; AccumOffset: 12
; Occupancy: 8
; WaveLimiterHint : 0
; COMPUTE_PGM_RSRC2:SCRATCH_EN: 0
; COMPUTE_PGM_RSRC2:USER_SGPR: 6
; COMPUTE_PGM_RSRC2:TRAP_HANDLER: 0
; COMPUTE_PGM_RSRC2:TGID_X_EN: 1
; COMPUTE_PGM_RSRC2:TGID_Y_EN: 1
; COMPUTE_PGM_RSRC2:TGID_Z_EN: 1
; COMPUTE_PGM_RSRC2:TIDIG_COMP_CNT: 1
; COMPUTE_PGM_RSRC3_GFX90A:ACCUM_OFFSET: 2
; COMPUTE_PGM_RSRC3_GFX90A:TG_SPLIT: 0
	.section	.text._ZN9rocsolver6v33100L16orgl2_init_identI19rocblas_complex_numIfEPS3_EEviiiT0_iil,"axG",@progbits,_ZN9rocsolver6v33100L16orgl2_init_identI19rocblas_complex_numIfEPS3_EEviiiT0_iil,comdat
	.globl	_ZN9rocsolver6v33100L16orgl2_init_identI19rocblas_complex_numIfEPS3_EEviiiT0_iil ; -- Begin function _ZN9rocsolver6v33100L16orgl2_init_identI19rocblas_complex_numIfEPS3_EEviiiT0_iil
	.p2align	8
	.type	_ZN9rocsolver6v33100L16orgl2_init_identI19rocblas_complex_numIfEPS3_EEviiiT0_iil,@function
_ZN9rocsolver6v33100L16orgl2_init_identI19rocblas_complex_numIfEPS3_EEviiiT0_iil: ; @_ZN9rocsolver6v33100L16orgl2_init_identI19rocblas_complex_numIfEPS3_EEviiiT0_iil
; %bb.0:
	s_load_dword s0, s[4:5], 0x34
	s_load_dwordx4 s[12:15], s[4:5], 0x0
	v_bfe_u32 v1, v0, 10, 10
	v_and_b32_e32 v0, 0x3ff, v0
	s_waitcnt lgkmcnt(0)
	s_lshr_b32 s1, s0, 16
	s_and_b32 s0, s0, 0xffff
	s_mul_i32 s7, s7, s1
	s_mul_i32 s6, s6, s0
	v_add_u32_e32 v2, s7, v1
	v_add_u32_e32 v4, s6, v0
	v_cmp_gt_u32_e32 vcc, s12, v4
	v_cmp_gt_u32_e64 s[0:1], s13, v2
	s_and_b64 s[0:1], vcc, s[0:1]
	s_and_saveexec_b64 s[2:3], s[0:1]
	s_cbranch_execz .LBB49_5
; %bb.1:
	s_load_dwordx4 s[0:3], s[4:5], 0x10
	s_load_dwordx2 s[6:7], s[4:5], 0x20
	v_cmp_ne_u32_e32 vcc, v4, v2
                                        ; implicit-def: $vgpr0_vgpr1
	s_waitcnt lgkmcnt(0)
	s_ashr_i32 s5, s2, 31
	s_mov_b32 s4, s2
	s_mul_i32 s2, s8, s7
	s_mul_hi_u32 s7, s8, s6
	s_add_i32 s7, s7, s2
	s_mul_i32 s6, s8, s6
	s_lshl_b64 s[6:7], s[6:7], 3
	s_add_u32 s2, s0, s6
	s_addc_u32 s6, s1, s7
	s_lshl_b64 s[0:1], s[4:5], 3
	s_add_u32 s2, s2, s0
	s_addc_u32 s10, s6, s1
	s_mov_b64 s[4:5], 0
	s_and_saveexec_b64 s[0:1], vcc
	s_xor_b64 s[0:1], exec, s[0:1]
	s_cbranch_execnz .LBB49_6
; %bb.2:
	s_andn2_saveexec_b64 s[0:1], s[0:1]
	s_cbranch_execnz .LBB49_13
.LBB49_3:
	s_or_b64 exec, exec, s[0:1]
	s_and_b64 exec, exec, s[4:5]
	s_cbranch_execz .LBB49_5
.LBB49_4:
	v_mov_b32_e32 v2, 0
	global_store_dword v[0:1], v2, off
.LBB49_5:
	s_endpgm
.LBB49_6:
	v_cmp_ge_u32_e32 vcc, v2, v4
                                        ; implicit-def: $vgpr0_vgpr1
	s_and_saveexec_b64 s[6:7], vcc
	s_xor_b64 s[6:7], exec, s[6:7]
	s_cbranch_execz .LBB49_10
; %bb.7:
	v_cmp_le_u32_e32 vcc, s14, v4
                                        ; implicit-def: $vgpr0_vgpr1
	s_and_saveexec_b64 s[8:9], vcc
	s_xor_b64 s[8:9], exec, s[8:9]
	s_cbranch_execz .LBB49_9
; %bb.8:
	v_mad_u64_u32 v[2:3], s[12:13], v2, s3, v[4:5]
	v_mov_b32_e32 v3, 0
	v_lshlrev_b64 v[0:1], 3, v[2:3]
	v_mov_b32_e32 v2, s10
	v_add_co_u32_e32 v4, vcc, s2, v0
	v_addc_co_u32_e32 v5, vcc, v2, v1, vcc
	v_add_co_u32_e32 v0, vcc, 4, v4
	s_mov_b64 s[4:5], exec
	v_addc_co_u32_e32 v1, vcc, 0, v5, vcc
	global_store_dword v[4:5], v3, off
.LBB49_9:
	s_or_b64 exec, exec, s[8:9]
	s_and_b64 s[4:5], s[4:5], exec
                                        ; implicit-def: $vgpr4
                                        ; implicit-def: $vgpr2
.LBB49_10:
	s_andn2_saveexec_b64 s[6:7], s[6:7]
	s_cbranch_execz .LBB49_12
; %bb.11:
	v_mad_u64_u32 v[0:1], s[8:9], v2, s3, v[4:5]
	v_mov_b32_e32 v1, 0
	v_lshlrev_b64 v[2:3], 3, v[0:1]
	v_mov_b32_e32 v0, s10
	v_add_co_u32_e32 v2, vcc, s2, v2
	v_addc_co_u32_e32 v3, vcc, v0, v3, vcc
	v_add_co_u32_e32 v0, vcc, 4, v2
	global_store_dword v[2:3], v1, off
	v_addc_co_u32_e32 v1, vcc, 0, v3, vcc
	s_or_b64 s[4:5], s[4:5], exec
.LBB49_12:
	s_or_b64 exec, exec, s[6:7]
	s_and_b64 s[4:5], s[4:5], exec
                                        ; implicit-def: $vgpr2
	s_andn2_saveexec_b64 s[0:1], s[0:1]
	s_cbranch_execz .LBB49_3
.LBB49_13:
	v_mad_u64_u32 v[0:1], s[6:7], v2, s3, v[2:3]
	v_mov_b32_e32 v1, 0
	v_lshlrev_b64 v[0:1], 3, v[0:1]
	v_mov_b32_e32 v2, s10
	v_add_co_u32_e32 v0, vcc, s2, v0
	v_addc_co_u32_e32 v1, vcc, v2, v1, vcc
	v_mov_b32_e32 v2, 1.0
	global_store_dword v[0:1], v2, off
	v_add_co_u32_e32 v0, vcc, 4, v0
	v_addc_co_u32_e32 v1, vcc, 0, v1, vcc
	s_or_b64 s[4:5], s[4:5], exec
	s_or_b64 exec, exec, s[0:1]
	s_and_b64 exec, exec, s[4:5]
	s_cbranch_execnz .LBB49_4
	s_branch .LBB49_5
	.section	.rodata,"a",@progbits
	.p2align	6, 0x0
	.amdhsa_kernel _ZN9rocsolver6v33100L16orgl2_init_identI19rocblas_complex_numIfEPS3_EEviiiT0_iil
		.amdhsa_group_segment_fixed_size 0
		.amdhsa_private_segment_fixed_size 0
		.amdhsa_kernarg_size 296
		.amdhsa_user_sgpr_count 6
		.amdhsa_user_sgpr_private_segment_buffer 1
		.amdhsa_user_sgpr_dispatch_ptr 0
		.amdhsa_user_sgpr_queue_ptr 0
		.amdhsa_user_sgpr_kernarg_segment_ptr 1
		.amdhsa_user_sgpr_dispatch_id 0
		.amdhsa_user_sgpr_flat_scratch_init 0
		.amdhsa_user_sgpr_kernarg_preload_length 0
		.amdhsa_user_sgpr_kernarg_preload_offset 0
		.amdhsa_user_sgpr_private_segment_size 0
		.amdhsa_uses_dynamic_stack 0
		.amdhsa_system_sgpr_private_segment_wavefront_offset 0
		.amdhsa_system_sgpr_workgroup_id_x 1
		.amdhsa_system_sgpr_workgroup_id_y 1
		.amdhsa_system_sgpr_workgroup_id_z 1
		.amdhsa_system_sgpr_workgroup_info 0
		.amdhsa_system_vgpr_workitem_id 1
		.amdhsa_next_free_vgpr 6
		.amdhsa_next_free_sgpr 16
		.amdhsa_accum_offset 8
		.amdhsa_reserve_vcc 1
		.amdhsa_reserve_flat_scratch 0
		.amdhsa_float_round_mode_32 0
		.amdhsa_float_round_mode_16_64 0
		.amdhsa_float_denorm_mode_32 3
		.amdhsa_float_denorm_mode_16_64 3
		.amdhsa_dx10_clamp 1
		.amdhsa_ieee_mode 1
		.amdhsa_fp16_overflow 0
		.amdhsa_tg_split 0
		.amdhsa_exception_fp_ieee_invalid_op 0
		.amdhsa_exception_fp_denorm_src 0
		.amdhsa_exception_fp_ieee_div_zero 0
		.amdhsa_exception_fp_ieee_overflow 0
		.amdhsa_exception_fp_ieee_underflow 0
		.amdhsa_exception_fp_ieee_inexact 0
		.amdhsa_exception_int_div_zero 0
	.end_amdhsa_kernel
	.section	.text._ZN9rocsolver6v33100L16orgl2_init_identI19rocblas_complex_numIfEPS3_EEviiiT0_iil,"axG",@progbits,_ZN9rocsolver6v33100L16orgl2_init_identI19rocblas_complex_numIfEPS3_EEviiiT0_iil,comdat
.Lfunc_end49:
	.size	_ZN9rocsolver6v33100L16orgl2_init_identI19rocblas_complex_numIfEPS3_EEviiiT0_iil, .Lfunc_end49-_ZN9rocsolver6v33100L16orgl2_init_identI19rocblas_complex_numIfEPS3_EEviiiT0_iil
                                        ; -- End function
	.section	.AMDGPU.csdata,"",@progbits
; Kernel info:
; codeLenInByte = 452
; NumSgprs: 20
; NumVgprs: 6
; NumAgprs: 0
; TotalNumVgprs: 6
; ScratchSize: 0
; MemoryBound: 0
; FloatMode: 240
; IeeeMode: 1
; LDSByteSize: 0 bytes/workgroup (compile time only)
; SGPRBlocks: 2
; VGPRBlocks: 0
; NumSGPRsForWavesPerEU: 20
; NumVGPRsForWavesPerEU: 6
; AccumOffset: 8
; Occupancy: 8
; WaveLimiterHint : 0
; COMPUTE_PGM_RSRC2:SCRATCH_EN: 0
; COMPUTE_PGM_RSRC2:USER_SGPR: 6
; COMPUTE_PGM_RSRC2:TRAP_HANDLER: 0
; COMPUTE_PGM_RSRC2:TGID_X_EN: 1
; COMPUTE_PGM_RSRC2:TGID_Y_EN: 1
; COMPUTE_PGM_RSRC2:TGID_Z_EN: 1
; COMPUTE_PGM_RSRC2:TIDIG_COMP_CNT: 1
; COMPUTE_PGM_RSRC3_GFX90A:ACCUM_OFFSET: 1
; COMPUTE_PGM_RSRC3_GFX90A:TG_SPLIT: 0
	.section	.text._ZN9rocsolver6v33100L14copyshift_downI19rocblas_complex_numIfEPS3_EEvbiT0_iilPT_iil,"axG",@progbits,_ZN9rocsolver6v33100L14copyshift_downI19rocblas_complex_numIfEPS3_EEvbiT0_iilPT_iil,comdat
	.globl	_ZN9rocsolver6v33100L14copyshift_downI19rocblas_complex_numIfEPS3_EEvbiT0_iilPT_iil ; -- Begin function _ZN9rocsolver6v33100L14copyshift_downI19rocblas_complex_numIfEPS3_EEvbiT0_iilPT_iil
	.p2align	8
	.type	_ZN9rocsolver6v33100L14copyshift_downI19rocblas_complex_numIfEPS3_EEvbiT0_iilPT_iil,@function
_ZN9rocsolver6v33100L14copyshift_downI19rocblas_complex_numIfEPS3_EEvbiT0_iilPT_iil: ; @_ZN9rocsolver6v33100L14copyshift_downI19rocblas_complex_numIfEPS3_EEvbiT0_iilPT_iil
; %bb.0:
	s_load_dwordx4 s[12:15], s[4:5], 0x0
	s_load_dwordx4 s[0:3], s[4:5], 0x18
	s_load_dword s9, s[4:5], 0x44
	s_load_dwordx2 s[10:11], s[4:5], 0x10
	v_and_b32_e32 v1, 0x3ff, v0
	s_waitcnt lgkmcnt(0)
	s_bitcmp1_b32 s12, 0
	s_cselect_b64 s[16:17], -1, 0
	s_and_b32 s12, s9, 0xffff
	s_lshr_b32 s9, s9, 16
	s_mul_i32 s7, s7, s9
	s_mul_i32 s1, s8, s1
	s_mul_hi_u32 s9, s8, s0
	v_bfe_u32 v0, v0, 10, 10
	s_add_i32 s1, s9, s1
	s_mul_i32 s0, s8, s0
	s_xor_b64 s[16:17], s[16:17], -1
	s_mul_i32 s6, s6, s12
	v_add_u32_e32 v3, s7, v0
	s_ashr_i32 s7, s10, 31
	s_lshl_b64 s[0:1], s[0:1], 3
	v_add_u32_e32 v2, s6, v1
	s_mov_b32 s6, s10
	s_add_u32 s9, s14, s0
	s_addc_u32 s10, s15, s1
	s_lshl_b64 s[0:1], s[6:7], 3
	v_or_b32_e32 v0, v2, v3
	s_add_u32 s6, s9, s0
	v_cmp_eq_u32_e32 vcc, 0, v0
	s_addc_u32 s7, s10, s1
	s_and_b64 s[14:15], vcc, s[16:17]
	s_and_saveexec_b64 s[0:1], s[14:15]
	s_cbranch_execz .LBB50_2
; %bb.1:
	v_mov_b32_e32 v0, 1.0
	v_mov_b32_e32 v1, 0
	global_store_dwordx2 v1, v[0:1], s[6:7]
.LBB50_2:
	s_or_b64 exec, exec, s[0:1]
	v_max_u32_e32 v0, v3, v2
	v_cmp_gt_u32_e32 vcc, s13, v0
	v_cmp_le_u32_e64 s[0:1], v2, v3
	s_and_b64 s[0:1], s[0:1], vcc
	s_and_saveexec_b64 s[12:13], s[0:1]
	s_cbranch_execz .LBB50_11
; %bb.3:
	s_load_dword s0, s[4:5], 0x28
	s_load_dwordx2 s[12:13], s[4:5], 0x30
	v_add_u32_e32 v6, 1, v3
	v_mul_lo_u32 v0, v6, v3
	v_lshrrev_b32_e32 v0, 1, v0
	s_waitcnt lgkmcnt(0)
	s_ashr_i32 s1, s0, 31
	s_mul_i32 s5, s8, s13
	s_mul_hi_u32 s9, s8, s12
	s_mul_i32 s4, s8, s12
	s_add_i32 s5, s9, s5
	s_lshl_b64 s[4:5], s[4:5], 3
	s_add_u32 s2, s2, s4
	s_addc_u32 s3, s3, s5
	s_lshl_b64 s[0:1], s[0:1], 3
	s_add_u32 s2, s2, s0
	s_addc_u32 s3, s3, s1
	s_mov_b64 s[0:1], -1
	s_and_b64 vcc, exec, s[16:17]
	v_add_u32_e32 v0, v2, v0
	s_cbranch_vccz .LBB50_7
; %bb.4:
	v_mov_b32_e32 v1, 0
	v_lshlrev_b64 v[4:5], 3, v[0:1]
	v_mov_b32_e32 v7, s3
	v_add_co_u32_e32 v4, vcc, s2, v4
	v_addc_co_u32_e32 v5, vcc, v7, v5, vcc
	global_load_dwordx2 v[4:5], v[4:5], off
	v_mad_u64_u32 v[8:9], s[0:1], v6, s11, v[2:3]
	v_mov_b32_e32 v9, v1
	v_lshlrev_b64 v[8:9], 3, v[8:9]
	v_mov_b32_e32 v7, s7
	v_add_co_u32_e32 v8, vcc, s6, v8
	v_addc_co_u32_e32 v9, vcc, v7, v9, vcc
	v_cmp_eq_u32_e32 vcc, v2, v3
	s_waitcnt vmcnt(0)
	global_store_dwordx2 v[8:9], v[4:5], off
	s_and_saveexec_b64 s[0:1], vcc
	s_cbranch_execz .LBB50_6
; %bb.5:
	v_mov_b32_e32 v3, v1
	v_lshlrev_b64 v[4:5], 3, v[2:3]
	v_mov_b32_e32 v3, s7
	v_add_co_u32_e32 v4, vcc, s6, v4
	v_addc_co_u32_e32 v5, vcc, v3, v5, vcc
	v_mov_b32_e32 v8, v1
	v_mov_b32_e32 v9, v1
	global_store_dwordx2 v[4:5], v[8:9], off offset:8
.LBB50_6:
	s_or_b64 exec, exec, s[0:1]
	s_mov_b64 s[0:1], 0
.LBB50_7:
	s_andn2_b64 vcc, exec, s[0:1]
	s_cbranch_vccnz .LBB50_11
; %bb.8:
	v_cmp_ne_u32_e32 vcc, 0, v2
	v_mov_b32_e32 v1, 0
	v_mov_b32_e32 v4, 0
	;; [unrolled: 1-line block ×3, first 2 shown]
	s_and_saveexec_b64 s[0:1], vcc
	s_cbranch_execz .LBB50_10
; %bb.9:
	v_mul_lo_u32 v3, v6, s11
	v_add3_u32 v2, v2, v3, -1
	v_mov_b32_e32 v3, 0
	v_lshlrev_b64 v[2:3], 3, v[2:3]
	v_mov_b32_e32 v4, s7
	v_add_co_u32_e32 v2, vcc, s6, v2
	v_addc_co_u32_e32 v3, vcc, v4, v3, vcc
	global_load_dwordx2 v[4:5], v[2:3], off
.LBB50_10:
	s_or_b64 exec, exec, s[0:1]
	v_lshlrev_b64 v[0:1], 3, v[0:1]
	v_mov_b32_e32 v2, s3
	v_add_co_u32_e32 v0, vcc, s2, v0
	v_addc_co_u32_e32 v1, vcc, v2, v1, vcc
	s_waitcnt vmcnt(0)
	global_store_dwordx2 v[0:1], v[4:5], off
.LBB50_11:
	s_endpgm
	.section	.rodata,"a",@progbits
	.p2align	6, 0x0
	.amdhsa_kernel _ZN9rocsolver6v33100L14copyshift_downI19rocblas_complex_numIfEPS3_EEvbiT0_iilPT_iil
		.amdhsa_group_segment_fixed_size 0
		.amdhsa_private_segment_fixed_size 0
		.amdhsa_kernarg_size 312
		.amdhsa_user_sgpr_count 6
		.amdhsa_user_sgpr_private_segment_buffer 1
		.amdhsa_user_sgpr_dispatch_ptr 0
		.amdhsa_user_sgpr_queue_ptr 0
		.amdhsa_user_sgpr_kernarg_segment_ptr 1
		.amdhsa_user_sgpr_dispatch_id 0
		.amdhsa_user_sgpr_flat_scratch_init 0
		.amdhsa_user_sgpr_kernarg_preload_length 0
		.amdhsa_user_sgpr_kernarg_preload_offset 0
		.amdhsa_user_sgpr_private_segment_size 0
		.amdhsa_uses_dynamic_stack 0
		.amdhsa_system_sgpr_private_segment_wavefront_offset 0
		.amdhsa_system_sgpr_workgroup_id_x 1
		.amdhsa_system_sgpr_workgroup_id_y 1
		.amdhsa_system_sgpr_workgroup_id_z 1
		.amdhsa_system_sgpr_workgroup_info 0
		.amdhsa_system_vgpr_workitem_id 1
		.amdhsa_next_free_vgpr 10
		.amdhsa_next_free_sgpr 18
		.amdhsa_accum_offset 12
		.amdhsa_reserve_vcc 1
		.amdhsa_reserve_flat_scratch 0
		.amdhsa_float_round_mode_32 0
		.amdhsa_float_round_mode_16_64 0
		.amdhsa_float_denorm_mode_32 3
		.amdhsa_float_denorm_mode_16_64 3
		.amdhsa_dx10_clamp 1
		.amdhsa_ieee_mode 1
		.amdhsa_fp16_overflow 0
		.amdhsa_tg_split 0
		.amdhsa_exception_fp_ieee_invalid_op 0
		.amdhsa_exception_fp_denorm_src 0
		.amdhsa_exception_fp_ieee_div_zero 0
		.amdhsa_exception_fp_ieee_overflow 0
		.amdhsa_exception_fp_ieee_underflow 0
		.amdhsa_exception_fp_ieee_inexact 0
		.amdhsa_exception_int_div_zero 0
	.end_amdhsa_kernel
	.section	.text._ZN9rocsolver6v33100L14copyshift_downI19rocblas_complex_numIfEPS3_EEvbiT0_iilPT_iil,"axG",@progbits,_ZN9rocsolver6v33100L14copyshift_downI19rocblas_complex_numIfEPS3_EEvbiT0_iilPT_iil,comdat
.Lfunc_end50:
	.size	_ZN9rocsolver6v33100L14copyshift_downI19rocblas_complex_numIfEPS3_EEvbiT0_iilPT_iil, .Lfunc_end50-_ZN9rocsolver6v33100L14copyshift_downI19rocblas_complex_numIfEPS3_EEvbiT0_iilPT_iil
                                        ; -- End function
	.section	.AMDGPU.csdata,"",@progbits
; Kernel info:
; codeLenInByte = 560
; NumSgprs: 22
; NumVgprs: 10
; NumAgprs: 0
; TotalNumVgprs: 10
; ScratchSize: 0
; MemoryBound: 0
; FloatMode: 240
; IeeeMode: 1
; LDSByteSize: 0 bytes/workgroup (compile time only)
; SGPRBlocks: 2
; VGPRBlocks: 1
; NumSGPRsForWavesPerEU: 22
; NumVGPRsForWavesPerEU: 10
; AccumOffset: 12
; Occupancy: 8
; WaveLimiterHint : 0
; COMPUTE_PGM_RSRC2:SCRATCH_EN: 0
; COMPUTE_PGM_RSRC2:USER_SGPR: 6
; COMPUTE_PGM_RSRC2:TRAP_HANDLER: 0
; COMPUTE_PGM_RSRC2:TGID_X_EN: 1
; COMPUTE_PGM_RSRC2:TGID_Y_EN: 1
; COMPUTE_PGM_RSRC2:TGID_Z_EN: 1
; COMPUTE_PGM_RSRC2:TIDIG_COMP_CNT: 1
; COMPUTE_PGM_RSRC3_GFX90A:ACCUM_OFFSET: 2
; COMPUTE_PGM_RSRC3_GFX90A:TG_SPLIT: 0
	.section	.text._ZN9rocsolver6v33100L6iota_nI19rocblas_complex_numIdEEEvPT_jS4_,"axG",@progbits,_ZN9rocsolver6v33100L6iota_nI19rocblas_complex_numIdEEEvPT_jS4_,comdat
	.globl	_ZN9rocsolver6v33100L6iota_nI19rocblas_complex_numIdEEEvPT_jS4_ ; -- Begin function _ZN9rocsolver6v33100L6iota_nI19rocblas_complex_numIdEEEvPT_jS4_
	.p2align	8
	.type	_ZN9rocsolver6v33100L6iota_nI19rocblas_complex_numIdEEEvPT_jS4_,@function
_ZN9rocsolver6v33100L6iota_nI19rocblas_complex_numIdEEEvPT_jS4_: ; @_ZN9rocsolver6v33100L6iota_nI19rocblas_complex_numIdEEEvPT_jS4_
; %bb.0:
	s_load_dword s0, s[4:5], 0x8
	s_waitcnt lgkmcnt(0)
	v_cmp_gt_u32_e32 vcc, s0, v0
	s_and_saveexec_b64 s[0:1], vcc
	s_cbranch_execz .LBB51_2
; %bb.1:
	s_load_dwordx4 s[0:3], s[4:5], 0x10
	s_load_dwordx2 s[6:7], s[4:5], 0x0
	v_lshlrev_b32_e32 v4, 4, v0
	v_cvt_f64_u32_e32 v[0:1], v0
	s_waitcnt lgkmcnt(0)
	v_add_f64 v[2:3], s[2:3], 0
	v_add_f64 v[0:1], s[0:1], v[0:1]
	global_store_dwordx4 v4, v[0:3], s[6:7]
.LBB51_2:
	s_endpgm
	.section	.rodata,"a",@progbits
	.p2align	6, 0x0
	.amdhsa_kernel _ZN9rocsolver6v33100L6iota_nI19rocblas_complex_numIdEEEvPT_jS4_
		.amdhsa_group_segment_fixed_size 0
		.amdhsa_private_segment_fixed_size 0
		.amdhsa_kernarg_size 32
		.amdhsa_user_sgpr_count 6
		.amdhsa_user_sgpr_private_segment_buffer 1
		.amdhsa_user_sgpr_dispatch_ptr 0
		.amdhsa_user_sgpr_queue_ptr 0
		.amdhsa_user_sgpr_kernarg_segment_ptr 1
		.amdhsa_user_sgpr_dispatch_id 0
		.amdhsa_user_sgpr_flat_scratch_init 0
		.amdhsa_user_sgpr_kernarg_preload_length 0
		.amdhsa_user_sgpr_kernarg_preload_offset 0
		.amdhsa_user_sgpr_private_segment_size 0
		.amdhsa_uses_dynamic_stack 0
		.amdhsa_system_sgpr_private_segment_wavefront_offset 0
		.amdhsa_system_sgpr_workgroup_id_x 1
		.amdhsa_system_sgpr_workgroup_id_y 0
		.amdhsa_system_sgpr_workgroup_id_z 0
		.amdhsa_system_sgpr_workgroup_info 0
		.amdhsa_system_vgpr_workitem_id 0
		.amdhsa_next_free_vgpr 5
		.amdhsa_next_free_sgpr 8
		.amdhsa_accum_offset 8
		.amdhsa_reserve_vcc 1
		.amdhsa_reserve_flat_scratch 0
		.amdhsa_float_round_mode_32 0
		.amdhsa_float_round_mode_16_64 0
		.amdhsa_float_denorm_mode_32 3
		.amdhsa_float_denorm_mode_16_64 3
		.amdhsa_dx10_clamp 1
		.amdhsa_ieee_mode 1
		.amdhsa_fp16_overflow 0
		.amdhsa_tg_split 0
		.amdhsa_exception_fp_ieee_invalid_op 0
		.amdhsa_exception_fp_denorm_src 0
		.amdhsa_exception_fp_ieee_div_zero 0
		.amdhsa_exception_fp_ieee_overflow 0
		.amdhsa_exception_fp_ieee_underflow 0
		.amdhsa_exception_fp_ieee_inexact 0
		.amdhsa_exception_int_div_zero 0
	.end_amdhsa_kernel
	.section	.text._ZN9rocsolver6v33100L6iota_nI19rocblas_complex_numIdEEEvPT_jS4_,"axG",@progbits,_ZN9rocsolver6v33100L6iota_nI19rocblas_complex_numIdEEEvPT_jS4_,comdat
.Lfunc_end51:
	.size	_ZN9rocsolver6v33100L6iota_nI19rocblas_complex_numIdEEEvPT_jS4_, .Lfunc_end51-_ZN9rocsolver6v33100L6iota_nI19rocblas_complex_numIdEEEvPT_jS4_
                                        ; -- End function
	.section	.AMDGPU.csdata,"",@progbits
; Kernel info:
; codeLenInByte = 80
; NumSgprs: 12
; NumVgprs: 5
; NumAgprs: 0
; TotalNumVgprs: 5
; ScratchSize: 0
; MemoryBound: 0
; FloatMode: 240
; IeeeMode: 1
; LDSByteSize: 0 bytes/workgroup (compile time only)
; SGPRBlocks: 1
; VGPRBlocks: 0
; NumSGPRsForWavesPerEU: 12
; NumVGPRsForWavesPerEU: 5
; AccumOffset: 8
; Occupancy: 8
; WaveLimiterHint : 0
; COMPUTE_PGM_RSRC2:SCRATCH_EN: 0
; COMPUTE_PGM_RSRC2:USER_SGPR: 6
; COMPUTE_PGM_RSRC2:TRAP_HANDLER: 0
; COMPUTE_PGM_RSRC2:TGID_X_EN: 1
; COMPUTE_PGM_RSRC2:TGID_Y_EN: 0
; COMPUTE_PGM_RSRC2:TGID_Z_EN: 0
; COMPUTE_PGM_RSRC2:TIDIG_COMP_CNT: 0
; COMPUTE_PGM_RSRC3_GFX90A:ACCUM_OFFSET: 1
; COMPUTE_PGM_RSRC3_GFX90A:TG_SPLIT: 0
	.section	.text._ZN9rocsolver6v33100L16org2r_init_identI19rocblas_complex_numIdEPS3_EEviiiT0_iil,"axG",@progbits,_ZN9rocsolver6v33100L16org2r_init_identI19rocblas_complex_numIdEPS3_EEviiiT0_iil,comdat
	.globl	_ZN9rocsolver6v33100L16org2r_init_identI19rocblas_complex_numIdEPS3_EEviiiT0_iil ; -- Begin function _ZN9rocsolver6v33100L16org2r_init_identI19rocblas_complex_numIdEPS3_EEviiiT0_iil
	.p2align	8
	.type	_ZN9rocsolver6v33100L16org2r_init_identI19rocblas_complex_numIdEPS3_EEviiiT0_iil,@function
_ZN9rocsolver6v33100L16org2r_init_identI19rocblas_complex_numIdEPS3_EEviiiT0_iil: ; @_ZN9rocsolver6v33100L16org2r_init_identI19rocblas_complex_numIdEPS3_EEviiiT0_iil
; %bb.0:
	s_load_dword s0, s[4:5], 0x34
	s_load_dwordx4 s[12:15], s[4:5], 0x0
	v_bfe_u32 v1, v0, 10, 10
	v_and_b32_e32 v0, 0x3ff, v0
	s_waitcnt lgkmcnt(0)
	s_lshr_b32 s1, s0, 16
	s_and_b32 s0, s0, 0xffff
	s_mul_i32 s7, s7, s1
	s_mul_i32 s6, s6, s0
	v_add_u32_e32 v2, s7, v1
	v_add_u32_e32 v4, s6, v0
	v_cmp_gt_u32_e32 vcc, s12, v4
	v_cmp_gt_u32_e64 s[0:1], s13, v2
	s_and_b64 s[0:1], vcc, s[0:1]
	s_and_saveexec_b64 s[2:3], s[0:1]
	s_cbranch_execz .LBB52_5
; %bb.1:
	s_load_dwordx4 s[0:3], s[4:5], 0x10
	s_load_dwordx2 s[6:7], s[4:5], 0x20
	v_cmp_ne_u32_e32 vcc, v4, v2
                                        ; implicit-def: $vgpr0_vgpr1
	s_waitcnt lgkmcnt(0)
	s_ashr_i32 s5, s2, 31
	s_mov_b32 s4, s2
	s_mul_i32 s2, s8, s7
	s_mul_hi_u32 s7, s8, s6
	s_add_i32 s7, s7, s2
	s_mul_i32 s6, s8, s6
	s_lshl_b64 s[6:7], s[6:7], 4
	s_add_u32 s2, s0, s6
	s_addc_u32 s6, s1, s7
	s_lshl_b64 s[0:1], s[4:5], 4
	s_add_u32 s2, s2, s0
	s_addc_u32 s10, s6, s1
	s_mov_b64 s[4:5], 0
	s_and_saveexec_b64 s[0:1], vcc
	s_xor_b64 s[0:1], exec, s[0:1]
	s_cbranch_execnz .LBB52_6
; %bb.2:
	s_andn2_saveexec_b64 s[0:1], s[0:1]
	s_cbranch_execnz .LBB52_13
.LBB52_3:
	s_or_b64 exec, exec, s[0:1]
	s_and_b64 exec, exec, s[4:5]
	s_cbranch_execz .LBB52_5
.LBB52_4:
	v_mov_b32_e32 v2, 0
	v_mov_b32_e32 v3, v2
	global_store_dwordx2 v[0:1], v[2:3], off
.LBB52_5:
	s_endpgm
.LBB52_6:
	v_cmp_le_u32_e32 vcc, v2, v4
                                        ; implicit-def: $vgpr0_vgpr1
	s_and_saveexec_b64 s[6:7], vcc
	s_xor_b64 s[6:7], exec, s[6:7]
	s_cbranch_execz .LBB52_10
; %bb.7:
	v_cmp_le_u32_e32 vcc, s14, v2
                                        ; implicit-def: $vgpr0_vgpr1
	s_and_saveexec_b64 s[8:9], vcc
	s_xor_b64 s[8:9], exec, s[8:9]
	s_cbranch_execz .LBB52_9
; %bb.8:
	v_mad_u64_u32 v[2:3], s[12:13], v2, s3, v[4:5]
	v_mov_b32_e32 v3, 0
	v_lshlrev_b64 v[0:1], 4, v[2:3]
	v_mov_b32_e32 v2, s10
	v_add_co_u32_e32 v4, vcc, s2, v0
	v_addc_co_u32_e32 v5, vcc, v2, v1, vcc
	v_add_co_u32_e32 v0, vcc, 8, v4
	s_mov_b64 s[4:5], exec
	v_addc_co_u32_e32 v1, vcc, 0, v5, vcc
	v_mov_b32_e32 v2, v3
	global_store_dwordx2 v[4:5], v[2:3], off
.LBB52_9:
	s_or_b64 exec, exec, s[8:9]
	s_and_b64 s[4:5], s[4:5], exec
                                        ; implicit-def: $vgpr4
                                        ; implicit-def: $vgpr2
.LBB52_10:
	s_andn2_saveexec_b64 s[6:7], s[6:7]
	s_cbranch_execz .LBB52_12
; %bb.11:
	v_mad_u64_u32 v[0:1], s[8:9], v2, s3, v[4:5]
	v_mov_b32_e32 v1, 0
	v_lshlrev_b64 v[2:3], 4, v[0:1]
	v_mov_b32_e32 v0, s10
	v_add_co_u32_e32 v2, vcc, s2, v2
	v_addc_co_u32_e32 v3, vcc, v0, v3, vcc
	v_mov_b32_e32 v0, v1
	global_store_dwordx2 v[2:3], v[0:1], off
	v_add_co_u32_e32 v0, vcc, 8, v2
	v_addc_co_u32_e32 v1, vcc, 0, v3, vcc
	s_or_b64 s[4:5], s[4:5], exec
.LBB52_12:
	s_or_b64 exec, exec, s[6:7]
	s_and_b64 s[4:5], s[4:5], exec
                                        ; implicit-def: $vgpr2
	s_andn2_saveexec_b64 s[0:1], s[0:1]
	s_cbranch_execz .LBB52_3
.LBB52_13:
	v_mad_u64_u32 v[0:1], s[6:7], v2, s3, v[2:3]
	v_mov_b32_e32 v1, 0
	v_lshlrev_b64 v[2:3], 4, v[0:1]
	v_mov_b32_e32 v0, s10
	v_add_co_u32_e32 v2, vcc, s2, v2
	v_addc_co_u32_e32 v3, vcc, v0, v3, vcc
	v_add_co_u32_e32 v0, vcc, 8, v2
	v_mov_b32_e32 v5, 0x3ff00000
	v_mov_b32_e32 v4, v1
	v_addc_co_u32_e32 v1, vcc, 0, v3, vcc
	s_or_b64 s[4:5], s[4:5], exec
	global_store_dwordx2 v[2:3], v[4:5], off
	s_or_b64 exec, exec, s[0:1]
	s_and_b64 exec, exec, s[4:5]
	s_cbranch_execnz .LBB52_4
	s_branch .LBB52_5
	.section	.rodata,"a",@progbits
	.p2align	6, 0x0
	.amdhsa_kernel _ZN9rocsolver6v33100L16org2r_init_identI19rocblas_complex_numIdEPS3_EEviiiT0_iil
		.amdhsa_group_segment_fixed_size 0
		.amdhsa_private_segment_fixed_size 0
		.amdhsa_kernarg_size 296
		.amdhsa_user_sgpr_count 6
		.amdhsa_user_sgpr_private_segment_buffer 1
		.amdhsa_user_sgpr_dispatch_ptr 0
		.amdhsa_user_sgpr_queue_ptr 0
		.amdhsa_user_sgpr_kernarg_segment_ptr 1
		.amdhsa_user_sgpr_dispatch_id 0
		.amdhsa_user_sgpr_flat_scratch_init 0
		.amdhsa_user_sgpr_kernarg_preload_length 0
		.amdhsa_user_sgpr_kernarg_preload_offset 0
		.amdhsa_user_sgpr_private_segment_size 0
		.amdhsa_uses_dynamic_stack 0
		.amdhsa_system_sgpr_private_segment_wavefront_offset 0
		.amdhsa_system_sgpr_workgroup_id_x 1
		.amdhsa_system_sgpr_workgroup_id_y 1
		.amdhsa_system_sgpr_workgroup_id_z 1
		.amdhsa_system_sgpr_workgroup_info 0
		.amdhsa_system_vgpr_workitem_id 1
		.amdhsa_next_free_vgpr 6
		.amdhsa_next_free_sgpr 16
		.amdhsa_accum_offset 8
		.amdhsa_reserve_vcc 1
		.amdhsa_reserve_flat_scratch 0
		.amdhsa_float_round_mode_32 0
		.amdhsa_float_round_mode_16_64 0
		.amdhsa_float_denorm_mode_32 3
		.amdhsa_float_denorm_mode_16_64 3
		.amdhsa_dx10_clamp 1
		.amdhsa_ieee_mode 1
		.amdhsa_fp16_overflow 0
		.amdhsa_tg_split 0
		.amdhsa_exception_fp_ieee_invalid_op 0
		.amdhsa_exception_fp_denorm_src 0
		.amdhsa_exception_fp_ieee_div_zero 0
		.amdhsa_exception_fp_ieee_overflow 0
		.amdhsa_exception_fp_ieee_underflow 0
		.amdhsa_exception_fp_ieee_inexact 0
		.amdhsa_exception_int_div_zero 0
	.end_amdhsa_kernel
	.section	.text._ZN9rocsolver6v33100L16org2r_init_identI19rocblas_complex_numIdEPS3_EEviiiT0_iil,"axG",@progbits,_ZN9rocsolver6v33100L16org2r_init_identI19rocblas_complex_numIdEPS3_EEviiiT0_iil,comdat
.Lfunc_end52:
	.size	_ZN9rocsolver6v33100L16org2r_init_identI19rocblas_complex_numIdEPS3_EEviiiT0_iil, .Lfunc_end52-_ZN9rocsolver6v33100L16org2r_init_identI19rocblas_complex_numIdEPS3_EEviiiT0_iil
                                        ; -- End function
	.section	.AMDGPU.csdata,"",@progbits
; Kernel info:
; codeLenInByte = 472
; NumSgprs: 20
; NumVgprs: 6
; NumAgprs: 0
; TotalNumVgprs: 6
; ScratchSize: 0
; MemoryBound: 0
; FloatMode: 240
; IeeeMode: 1
; LDSByteSize: 0 bytes/workgroup (compile time only)
; SGPRBlocks: 2
; VGPRBlocks: 0
; NumSGPRsForWavesPerEU: 20
; NumVGPRsForWavesPerEU: 6
; AccumOffset: 8
; Occupancy: 8
; WaveLimiterHint : 0
; COMPUTE_PGM_RSRC2:SCRATCH_EN: 0
; COMPUTE_PGM_RSRC2:USER_SGPR: 6
; COMPUTE_PGM_RSRC2:TRAP_HANDLER: 0
; COMPUTE_PGM_RSRC2:TGID_X_EN: 1
; COMPUTE_PGM_RSRC2:TGID_Y_EN: 1
; COMPUTE_PGM_RSRC2:TGID_Z_EN: 1
; COMPUTE_PGM_RSRC2:TIDIG_COMP_CNT: 1
; COMPUTE_PGM_RSRC3_GFX90A:ACCUM_OFFSET: 1
; COMPUTE_PGM_RSRC3_GFX90A:TG_SPLIT: 0
	.section	.text._ZN9rocsolver6v33100L16larf_left_kernelILi1024E19rocblas_complex_numIdEiPS3_EEvT1_S5_T2_lS5_lPKT0_lS6_lS5_l,"axG",@progbits,_ZN9rocsolver6v33100L16larf_left_kernelILi1024E19rocblas_complex_numIdEiPS3_EEvT1_S5_T2_lS5_lPKT0_lS6_lS5_l,comdat
	.globl	_ZN9rocsolver6v33100L16larf_left_kernelILi1024E19rocblas_complex_numIdEiPS3_EEvT1_S5_T2_lS5_lPKT0_lS6_lS5_l ; -- Begin function _ZN9rocsolver6v33100L16larf_left_kernelILi1024E19rocblas_complex_numIdEiPS3_EEvT1_S5_T2_lS5_lPKT0_lS6_lS5_l
	.p2align	8
	.type	_ZN9rocsolver6v33100L16larf_left_kernelILi1024E19rocblas_complex_numIdEiPS3_EEvT1_S5_T2_lS5_lPKT0_lS6_lS5_l,@function
_ZN9rocsolver6v33100L16larf_left_kernelILi1024E19rocblas_complex_numIdEiPS3_EEvT1_S5_T2_lS5_lPKT0_lS6_lS5_l: ; @_ZN9rocsolver6v33100L16larf_left_kernelILi1024E19rocblas_complex_numIdEiPS3_EEvT1_S5_T2_lS5_lPKT0_lS6_lS5_l
; %bb.0:
	s_load_dword s9, s[4:5], 0x0
	s_load_dwordx8 s[12:19], s[4:5], 0x20
	s_load_dwordx2 s[2:3], s[4:5], 0x40
	s_load_dword s20, s[4:5], 0x48
	s_load_dwordx2 s[10:11], s[4:5], 0x50
	s_ashr_i32 s27, s8, 31
	v_pk_mov_b32 v[2:3], 0, 0
	s_waitcnt lgkmcnt(0)
	v_cmp_gt_i32_e64 s[0:1], s9, v0
	s_mov_b64 s[22:23], 0
	s_mul_i32 s24, s10, s27
	s_mul_hi_u32 s25, s10, s8
	s_mul_i32 s26, s11, s8
	s_mul_i32 s6, s10, s8
	s_mul_hi_i32 s11, s7, s20
	s_mul_i32 s10, s7, s20
	v_pk_mov_b32 v[4:5], v[2:3], v[2:3] op_sel:[0,1]
	s_and_saveexec_b64 s[20:21], s[0:1]
	s_cbranch_execz .LBB53_6
; %bb.1:
	s_load_dword s34, s[4:5], 0x18
	s_load_dwordx4 s[28:31], s[4:5], 0x8
	s_sub_i32 s4, 1, s9
	s_mul_hi_u32 s33, s12, s8
	s_mul_i32 s13, s13, s8
	s_waitcnt lgkmcnt(0)
	s_ashr_i32 s35, s34, 31
	s_mul_i32 s7, s4, s34
	v_cmp_lt_i64_e64 s[4:5], s[34:35], 1
	s_and_b64 s[4:5], s[4:5], exec
	s_cselect_b32 s4, s7, 0
	s_mul_i32 s7, s12, s27
	s_add_i32 s7, s33, s7
	s_ashr_i32 s5, s4, 31
	s_add_i32 s13, s7, s13
	s_mul_i32 s12, s12, s8
	s_lshl_b64 s[12:13], s[12:13], 4
	s_lshl_b64 s[30:31], s[30:31], 4
	;; [unrolled: 1-line block ×3, first 2 shown]
	s_add_u32 s4, s28, s4
	s_addc_u32 s5, s29, s5
	s_add_u32 s4, s4, s30
	s_addc_u32 s5, s5, s31
	v_mad_i64_i32 v[2:3], s[36:37], s34, v0, 0
	s_add_u32 s4, s4, s12
	v_lshl_add_u32 v1, v0, 4, 0
	v_lshlrev_b64 v[2:3], 4, v[2:3]
	s_addc_u32 s5, s5, s13
	v_add_u32_e32 v1, 0x100, v1
	v_mov_b32_e32 v4, s5
	v_add_co_u32_e32 v2, vcc, s4, v2
	s_lshl_b64 s[4:5], s[34:35], 14
	v_addc_co_u32_e32 v3, vcc, v4, v3, vcc
	v_mov_b32_e32 v4, s5
	v_mov_b32_e32 v5, v1
	;; [unrolled: 1-line block ×3, first 2 shown]
.LBB53_2:                               ; =>This Inner Loop Header: Depth=1
	global_load_dwordx4 v[8:11], v[2:3], off
	v_add_co_u32_e32 v2, vcc, s4, v2
	v_add_u32_e32 v6, 0x400, v6
	v_addc_co_u32_e32 v3, vcc, v3, v4, vcc
	v_cmp_le_i32_e32 vcc, s9, v6
	s_or_b64 s[22:23], vcc, s[22:23]
	s_waitcnt vmcnt(0)
	ds_write2_b64 v5, v[8:9], v[10:11] offset1:1
	v_add_u32_e32 v5, 0x4000, v5
	s_andn2_b64 exec, exec, s[22:23]
	s_cbranch_execnz .LBB53_2
; %bb.3:
	s_or_b64 exec, exec, s[22:23]
	s_add_i32 s4, s25, s24
	s_add_i32 s7, s4, s26
	s_lshl_b64 s[4:5], s[6:7], 4
	s_lshl_b64 s[12:13], s[10:11], 4
	s_add_u32 s7, s4, s12
	s_addc_u32 s12, s5, s13
	s_lshl_b64 s[4:5], s[2:3], 4
	s_add_u32 s4, s7, s4
	s_addc_u32 s5, s12, s5
	s_add_u32 s4, s18, s4
	v_lshlrev_b32_e32 v2, 4, v0
	s_addc_u32 s5, s19, s5
	v_mov_b32_e32 v3, s5
	v_add_co_u32_e32 v2, vcc, s4, v2
	v_addc_co_u32_e32 v3, vcc, 0, v3, vcc
	v_add_co_u32_e32 v6, vcc, 8, v2
	v_addc_co_u32_e32 v7, vcc, 0, v3, vcc
	v_pk_mov_b32 v[2:3], 0, 0
	s_mov_b64 s[4:5], 0
	v_mov_b32_e32 v8, v0
	v_pk_mov_b32 v[4:5], v[2:3], v[2:3] op_sel:[0,1]
.LBB53_4:                               ; =>This Inner Loop Header: Depth=1
	global_load_dwordx4 v[10:13], v[6:7], off offset:-8
	ds_read2_b64 v[14:17], v1 offset1:1
	v_add_co_u32_e32 v6, vcc, 0x4000, v6
	v_add_u32_e32 v8, 0x400, v8
	v_addc_co_u32_e32 v7, vcc, 0, v7, vcc
	v_cmp_le_i32_e32 vcc, s9, v8
	v_add_u32_e32 v1, 0x4000, v1
	s_or_b64 s[4:5], vcc, s[4:5]
	s_waitcnt vmcnt(0) lgkmcnt(0)
	v_mul_f64 v[18:19], v[12:13], v[16:17]
	v_mul_f64 v[12:13], v[12:13], v[14:15]
	v_fmac_f64_e32 v[18:19], v[10:11], v[14:15]
	v_fma_f64 v[10:11], v[10:11], v[16:17], -v[12:13]
	v_add_f64 v[4:5], v[4:5], v[18:19]
	v_add_f64 v[2:3], v[2:3], v[10:11]
	s_andn2_b64 exec, exec, s[4:5]
	s_cbranch_execnz .LBB53_4
; %bb.5:
	s_or_b64 exec, exec, s[4:5]
.LBB53_6:
	s_or_b64 exec, exec, s[20:21]
	v_mbcnt_lo_u32_b32 v1, -1, 0
	v_mbcnt_hi_u32_b32 v1, -1, v1
	v_and_b32_e32 v10, 63, v1
	v_cmp_ne_u32_e32 vcc, 63, v10
	v_addc_co_u32_e32 v6, vcc, 0, v1, vcc
	v_lshlrev_b32_e32 v9, 2, v6
	ds_bpermute_b32 v6, v9, v4
	ds_bpermute_b32 v7, v9, v5
	ds_bpermute_b32 v8, v9, v2
	ds_bpermute_b32 v9, v9, v3
	v_cmp_gt_u32_e32 vcc, 62, v10
	s_waitcnt lgkmcnt(2)
	v_add_f64 v[4:5], v[4:5], v[6:7]
	v_cndmask_b32_e64 v6, 0, 1, vcc
	v_lshlrev_b32_e32 v6, 1, v6
	s_waitcnt lgkmcnt(0)
	v_add_f64 v[2:3], v[2:3], v[8:9]
	v_add_lshl_u32 v9, v6, v1, 2
	ds_bpermute_b32 v6, v9, v4
	ds_bpermute_b32 v7, v9, v5
	ds_bpermute_b32 v8, v9, v2
	ds_bpermute_b32 v9, v9, v3
	v_cmp_gt_u32_e32 vcc, 60, v10
	s_waitcnt lgkmcnt(2)
	v_add_f64 v[4:5], v[4:5], v[6:7]
	v_cndmask_b32_e64 v6, 0, 1, vcc
	v_lshlrev_b32_e32 v6, 2, v6
	s_waitcnt lgkmcnt(0)
	v_add_f64 v[2:3], v[2:3], v[8:9]
	v_add_lshl_u32 v9, v6, v1, 2
	;; [unrolled: 12-line block ×4, first 2 shown]
	ds_bpermute_b32 v6, v9, v4
	ds_bpermute_b32 v7, v9, v5
	ds_bpermute_b32 v8, v9, v2
	ds_bpermute_b32 v9, v9, v3
	v_cmp_gt_u32_e32 vcc, 32, v10
	s_waitcnt lgkmcnt(2)
	v_add_f64 v[4:5], v[4:5], v[6:7]
	s_waitcnt lgkmcnt(0)
	v_add_f64 v[6:7], v[2:3], v[8:9]
	v_cndmask_b32_e64 v2, 0, 1, vcc
	v_lshlrev_b32_e32 v2, 5, v2
	v_add_lshl_u32 v1, v2, v1, 2
	ds_bpermute_b32 v2, v1, v4
	ds_bpermute_b32 v3, v1, v5
	;; [unrolled: 1-line block ×4, first 2 shown]
	v_and_b32_e32 v1, 63, v0
	v_cmp_eq_u32_e32 vcc, 0, v1
	s_waitcnt lgkmcnt(2)
	v_add_f64 v[2:3], v[4:5], v[2:3]
	s_waitcnt lgkmcnt(0)
	v_add_f64 v[4:5], v[6:7], v[8:9]
	s_and_saveexec_b64 s[4:5], vcc
	s_cbranch_execz .LBB53_8
; %bb.7:
	v_lshrrev_b32_e32 v1, 2, v0
	v_add_u32_e32 v1, 0, v1
	ds_write2_b64 v1, v[2:3], v[4:5] offset1:1
.LBB53_8:
	s_or_b64 exec, exec, s[4:5]
	v_cmp_eq_u32_e32 vcc, 0, v0
	s_waitcnt lgkmcnt(0)
	s_barrier
	s_and_saveexec_b64 s[4:5], vcc
	s_cbranch_execz .LBB53_10
; %bb.9:
	v_mov_b32_e32 v1, 0
	ds_read2_b64 v[6:9], v1 offset0:2 offset1:3
	ds_read2_b64 v[10:13], v1 offset0:4 offset1:5
	;; [unrolled: 1-line block ×4, first 2 shown]
	s_waitcnt lgkmcnt(3)
	v_add_f64 v[2:3], v[2:3], v[6:7]
	v_add_f64 v[4:5], v[4:5], v[8:9]
	s_waitcnt lgkmcnt(2)
	v_add_f64 v[2:3], v[2:3], v[10:11]
	v_add_f64 v[6:7], v[4:5], v[12:13]
	s_waitcnt lgkmcnt(1)
	v_add_f64 v[8:9], v[2:3], v[14:15]
	ds_read2_b64 v[2:5], v1 offset0:10 offset1:11
	v_add_f64 v[10:11], v[6:7], v[16:17]
	s_waitcnt lgkmcnt(1)
	v_add_f64 v[12:13], v[8:9], v[18:19]
	ds_read2_b64 v[6:9], v1 offset0:12 offset1:13
	v_add_f64 v[14:15], v[10:11], v[20:21]
	s_waitcnt lgkmcnt(1)
	v_add_f64 v[2:3], v[12:13], v[2:3]
	ds_read2_b64 v[10:13], v1 offset0:14 offset1:15
	v_add_f64 v[14:15], v[14:15], v[4:5]
	s_waitcnt lgkmcnt(1)
	v_add_f64 v[6:7], v[2:3], v[6:7]
	ds_read2_b64 v[2:5], v1 offset0:16 offset1:17
	v_add_f64 v[14:15], v[14:15], v[8:9]
	s_waitcnt lgkmcnt(1)
	v_add_f64 v[10:11], v[6:7], v[10:11]
	ds_read2_b64 v[6:9], v1 offset0:18 offset1:19
	v_add_f64 v[14:15], v[14:15], v[12:13]
	s_waitcnt lgkmcnt(1)
	v_add_f64 v[2:3], v[10:11], v[2:3]
	ds_read2_b64 v[10:13], v1 offset0:20 offset1:21
	v_add_f64 v[14:15], v[14:15], v[4:5]
	s_waitcnt lgkmcnt(1)
	v_add_f64 v[6:7], v[2:3], v[6:7]
	ds_read2_b64 v[2:5], v1 offset0:22 offset1:23
	v_add_f64 v[14:15], v[14:15], v[8:9]
	s_waitcnt lgkmcnt(1)
	v_add_f64 v[10:11], v[6:7], v[10:11]
	ds_read2_b64 v[6:9], v1 offset0:24 offset1:25
	v_add_f64 v[12:13], v[14:15], v[12:13]
	s_waitcnt lgkmcnt(1)
	v_add_f64 v[10:11], v[10:11], v[2:3]
	v_add_f64 v[14:15], v[12:13], v[4:5]
	ds_read2_b64 v[2:5], v1 offset0:26 offset1:27
	s_waitcnt lgkmcnt(1)
	v_add_f64 v[16:17], v[10:11], v[6:7]
	ds_read2_b64 v[10:13], v1 offset0:28 offset1:29
	v_add_f64 v[14:15], v[14:15], v[8:9]
	ds_read2_b64 v[6:9], v1 offset0:30 offset1:31
	s_waitcnt lgkmcnt(2)
	v_add_f64 v[2:3], v[16:17], v[2:3]
	v_add_f64 v[4:5], v[14:15], v[4:5]
	s_waitcnt lgkmcnt(1)
	v_add_f64 v[2:3], v[2:3], v[10:11]
	v_add_f64 v[4:5], v[4:5], v[12:13]
	;; [unrolled: 3-line block ×3, first 2 shown]
	ds_write2_b64 v1, v[2:3], v[4:5] offset1:1
.LBB53_10:
	s_or_b64 exec, exec, s[4:5]
	s_waitcnt lgkmcnt(0)
	s_barrier
	s_and_saveexec_b64 s[4:5], s[0:1]
	s_cbranch_execz .LBB53_13
; %bb.11:
	s_mul_i32 s0, s8, s17
	s_mul_hi_u32 s1, s8, s16
	s_add_i32 s0, s1, s0
	s_mul_i32 s1, s27, s16
	s_add_i32 s1, s0, s1
	s_mul_i32 s0, s8, s16
	s_lshl_b64 s[0:1], s[0:1], 4
	s_add_u32 s0, s14, s0
	s_addc_u32 s1, s15, s1
	s_load_dwordx4 s[12:15], s[0:1], 0x0
	v_mov_b32_e32 v1, 0
	s_add_i32 s0, s25, s24
	ds_read2_b64 v[4:7], v1 offset1:1
	s_add_i32 s7, s0, s26
	s_lshl_b64 s[0:1], s[6:7], 4
	s_lshl_b64 s[4:5], s[10:11], 4
	s_add_u32 s4, s0, s4
	s_addc_u32 s5, s1, s5
	s_lshl_b64 s[0:1], s[2:3], 4
	s_add_u32 s0, s4, s0
	s_waitcnt lgkmcnt(0)
	v_mul_f64 v[2:3], s[14:15], v[6:7]
	s_addc_u32 s1, s5, s1
	v_fma_f64 v[2:3], v[4:5], -s[12:13], -v[2:3]
	v_mul_f64 v[4:5], s[14:15], v[4:5]
	s_add_u32 s0, s18, s0
	v_fma_f64 v[4:5], s[12:13], v[6:7], -v[4:5]
	v_lshlrev_b32_e32 v6, 4, v0
	s_addc_u32 s1, s19, s1
	v_add_u32_e32 v1, 0, v6
	v_mov_b32_e32 v7, s1
	v_add_co_u32_e32 v6, vcc, s0, v6
	v_addc_co_u32_e32 v7, vcc, 0, v7, vcc
	v_add_co_u32_e32 v6, vcc, 8, v6
	v_add_u32_e32 v1, 0x100, v1
	v_addc_co_u32_e32 v7, vcc, 0, v7, vcc
	s_mov_b64 s[0:1], 0
.LBB53_12:                              ; =>This Inner Loop Header: Depth=1
	global_load_dwordx4 v[8:11], v[6:7], off offset:-8
	ds_read2_b64 v[12:15], v1 offset1:1
	v_add_u32_e32 v0, 0x400, v0
	v_cmp_le_i32_e32 vcc, s9, v0
	s_or_b64 s[0:1], vcc, s[0:1]
	v_add_u32_e32 v1, 0x4000, v1
	s_waitcnt lgkmcnt(0)
	v_mul_f64 v[16:17], v[4:5], v[14:15]
	v_mul_f64 v[14:15], v[2:3], v[14:15]
	v_fma_f64 v[16:17], v[2:3], v[12:13], -v[16:17]
	v_fmac_f64_e32 v[14:15], v[4:5], v[12:13]
	s_waitcnt vmcnt(0)
	v_add_f64 v[8:9], v[8:9], v[16:17]
	v_add_f64 v[10:11], v[10:11], v[14:15]
	global_store_dwordx4 v[6:7], v[8:11], off offset:-8
	v_add_co_u32_e32 v6, vcc, 0x4000, v6
	v_addc_co_u32_e32 v7, vcc, 0, v7, vcc
	s_andn2_b64 exec, exec, s[0:1]
	s_cbranch_execnz .LBB53_12
.LBB53_13:
	s_endpgm
	.section	.rodata,"a",@progbits
	.p2align	6, 0x0
	.amdhsa_kernel _ZN9rocsolver6v33100L16larf_left_kernelILi1024E19rocblas_complex_numIdEiPS3_EEvT1_S5_T2_lS5_lPKT0_lS6_lS5_l
		.amdhsa_group_segment_fixed_size 0
		.amdhsa_private_segment_fixed_size 0
		.amdhsa_kernarg_size 88
		.amdhsa_user_sgpr_count 6
		.amdhsa_user_sgpr_private_segment_buffer 1
		.amdhsa_user_sgpr_dispatch_ptr 0
		.amdhsa_user_sgpr_queue_ptr 0
		.amdhsa_user_sgpr_kernarg_segment_ptr 1
		.amdhsa_user_sgpr_dispatch_id 0
		.amdhsa_user_sgpr_flat_scratch_init 0
		.amdhsa_user_sgpr_kernarg_preload_length 0
		.amdhsa_user_sgpr_kernarg_preload_offset 0
		.amdhsa_user_sgpr_private_segment_size 0
		.amdhsa_uses_dynamic_stack 0
		.amdhsa_system_sgpr_private_segment_wavefront_offset 0
		.amdhsa_system_sgpr_workgroup_id_x 1
		.amdhsa_system_sgpr_workgroup_id_y 1
		.amdhsa_system_sgpr_workgroup_id_z 1
		.amdhsa_system_sgpr_workgroup_info 0
		.amdhsa_system_vgpr_workitem_id 0
		.amdhsa_next_free_vgpr 22
		.amdhsa_next_free_sgpr 38
		.amdhsa_accum_offset 24
		.amdhsa_reserve_vcc 1
		.amdhsa_reserve_flat_scratch 0
		.amdhsa_float_round_mode_32 0
		.amdhsa_float_round_mode_16_64 0
		.amdhsa_float_denorm_mode_32 3
		.amdhsa_float_denorm_mode_16_64 3
		.amdhsa_dx10_clamp 1
		.amdhsa_ieee_mode 1
		.amdhsa_fp16_overflow 0
		.amdhsa_tg_split 0
		.amdhsa_exception_fp_ieee_invalid_op 0
		.amdhsa_exception_fp_denorm_src 0
		.amdhsa_exception_fp_ieee_div_zero 0
		.amdhsa_exception_fp_ieee_overflow 0
		.amdhsa_exception_fp_ieee_underflow 0
		.amdhsa_exception_fp_ieee_inexact 0
		.amdhsa_exception_int_div_zero 0
	.end_amdhsa_kernel
	.section	.text._ZN9rocsolver6v33100L16larf_left_kernelILi1024E19rocblas_complex_numIdEiPS3_EEvT1_S5_T2_lS5_lPKT0_lS6_lS5_l,"axG",@progbits,_ZN9rocsolver6v33100L16larf_left_kernelILi1024E19rocblas_complex_numIdEiPS3_EEvT1_S5_T2_lS5_lPKT0_lS6_lS5_l,comdat
.Lfunc_end53:
	.size	_ZN9rocsolver6v33100L16larf_left_kernelILi1024E19rocblas_complex_numIdEiPS3_EEvT1_S5_T2_lS5_lPKT0_lS6_lS5_l, .Lfunc_end53-_ZN9rocsolver6v33100L16larf_left_kernelILi1024E19rocblas_complex_numIdEiPS3_EEvT1_S5_T2_lS5_lPKT0_lS6_lS5_l
                                        ; -- End function
	.section	.AMDGPU.csdata,"",@progbits
; Kernel info:
; codeLenInByte = 1848
; NumSgprs: 42
; NumVgprs: 22
; NumAgprs: 0
; TotalNumVgprs: 22
; ScratchSize: 0
; MemoryBound: 0
; FloatMode: 240
; IeeeMode: 1
; LDSByteSize: 0 bytes/workgroup (compile time only)
; SGPRBlocks: 5
; VGPRBlocks: 2
; NumSGPRsForWavesPerEU: 42
; NumVGPRsForWavesPerEU: 22
; AccumOffset: 24
; Occupancy: 8
; WaveLimiterHint : 0
; COMPUTE_PGM_RSRC2:SCRATCH_EN: 0
; COMPUTE_PGM_RSRC2:USER_SGPR: 6
; COMPUTE_PGM_RSRC2:TRAP_HANDLER: 0
; COMPUTE_PGM_RSRC2:TGID_X_EN: 1
; COMPUTE_PGM_RSRC2:TGID_Y_EN: 1
; COMPUTE_PGM_RSRC2:TGID_Z_EN: 1
; COMPUTE_PGM_RSRC2:TIDIG_COMP_CNT: 0
; COMPUTE_PGM_RSRC3_GFX90A:ACCUM_OFFSET: 5
; COMPUTE_PGM_RSRC3_GFX90A:TG_SPLIT: 0
	.section	.text._ZN9rocsolver6v33100L17larf_right_kernelILi1024E19rocblas_complex_numIdEiPS3_EEvT1_S5_T2_lS5_lPKT0_lS6_lS5_l,"axG",@progbits,_ZN9rocsolver6v33100L17larf_right_kernelILi1024E19rocblas_complex_numIdEiPS3_EEvT1_S5_T2_lS5_lPKT0_lS6_lS5_l,comdat
	.globl	_ZN9rocsolver6v33100L17larf_right_kernelILi1024E19rocblas_complex_numIdEiPS3_EEvT1_S5_T2_lS5_lPKT0_lS6_lS5_l ; -- Begin function _ZN9rocsolver6v33100L17larf_right_kernelILi1024E19rocblas_complex_numIdEiPS3_EEvT1_S5_T2_lS5_lPKT0_lS6_lS5_l
	.p2align	8
	.type	_ZN9rocsolver6v33100L17larf_right_kernelILi1024E19rocblas_complex_numIdEiPS3_EEvT1_S5_T2_lS5_lPKT0_lS6_lS5_l,@function
_ZN9rocsolver6v33100L17larf_right_kernelILi1024E19rocblas_complex_numIdEiPS3_EEvT1_S5_T2_lS5_lPKT0_lS6_lS5_l: ; @_ZN9rocsolver6v33100L17larf_right_kernelILi1024E19rocblas_complex_numIdEiPS3_EEvT1_S5_T2_lS5_lPKT0_lS6_lS5_l
; %bb.0:
	s_load_dword s9, s[4:5], 0x4
	s_load_dwordx8 s[12:19], s[4:5], 0x20
	s_load_dwordx2 s[10:11], s[4:5], 0x40
	s_load_dword s2, s[4:5], 0x48
	s_load_dwordx2 s[0:1], s[4:5], 0x50
	s_ashr_i32 s29, s8, 31
	v_pk_mov_b32 v[2:3], 0, 0
	s_mov_b32 s6, s7
	s_ashr_i32 s7, s7, 31
	s_waitcnt lgkmcnt(0)
	v_cmp_gt_i32_e32 vcc, s9, v0
	s_mov_b64 s[24:25], 0
	v_lshl_add_u32 v1, v0, 4, 0
	s_mul_i32 s26, s0, s29
	s_mul_hi_u32 s27, s0, s8
	s_mul_i32 s28, s1, s8
	s_mul_i32 s20, s0, s8
	v_pk_mov_b32 v[4:5], v[2:3], v[2:3] op_sel:[0,1]
	s_and_saveexec_b64 s[22:23], vcc
	s_cbranch_execz .LBB54_6
; %bb.1:
	s_load_dword s30, s[4:5], 0x18
	s_load_dwordx4 s[36:39], s[4:5], 0x8
	s_sub_i32 s0, 1, s9
	s_mul_hi_u32 s4, s12, s8
	v_add_u32_e32 v8, 0x100, v1
	s_waitcnt lgkmcnt(0)
	s_ashr_i32 s31, s30, 31
	s_mul_i32 s3, s0, s30
	v_cmp_lt_i64_e64 s[0:1], s[30:31], 1
	s_and_b64 s[0:1], s[0:1], exec
	s_cselect_b32 s0, s3, 0
	s_mul_i32 s3, s12, s29
	s_add_i32 s3, s4, s3
	s_mul_i32 s4, s13, s8
	s_ashr_i32 s1, s0, 31
	s_add_i32 s5, s3, s4
	s_mul_i32 s4, s12, s8
	v_mad_i64_i32 v[2:3], s[12:13], s30, v0, 0
	s_lshl_b64 s[4:5], s[4:5], 4
	s_lshl_b64 s[12:13], s[38:39], 4
	;; [unrolled: 1-line block ×3, first 2 shown]
	s_add_u32 s0, s36, s0
	s_addc_u32 s1, s37, s1
	s_add_u32 s0, s0, s12
	s_addc_u32 s1, s1, s13
	s_add_u32 s0, s0, s4
	v_lshlrev_b64 v[2:3], 4, v[2:3]
	s_addc_u32 s1, s1, s5
	v_mov_b32_e32 v4, s1
	v_add_co_u32_e64 v2, s[0:1], s0, v2
	s_lshl_b64 s[4:5], s[30:31], 14
	v_addc_co_u32_e64 v3, s[0:1], v4, v3, s[0:1]
	v_mov_b32_e32 v4, s5
	v_mov_b32_e32 v5, v8
	v_mov_b32_e32 v6, v0
.LBB54_2:                               ; =>This Inner Loop Header: Depth=1
	global_load_dwordx4 v[10:13], v[2:3], off
	v_add_co_u32_e64 v2, s[0:1], s4, v2
	v_add_u32_e32 v6, 0x400, v6
	v_addc_co_u32_e64 v3, s[0:1], v3, v4, s[0:1]
	v_cmp_le_i32_e64 s[0:1], s9, v6
	s_or_b64 s[24:25], s[0:1], s[24:25]
	s_waitcnt vmcnt(0)
	ds_write2_b64 v5, v[10:11], v[12:13] offset1:1
	v_add_u32_e32 v5, 0x4000, v5
	s_andn2_b64 exec, exec, s[24:25]
	s_cbranch_execnz .LBB54_2
; %bb.3:
	s_or_b64 exec, exec, s[24:25]
	s_add_i32 s0, s27, s26
	s_add_i32 s21, s0, s28
	v_mad_i64_i32 v[2:3], s[4:5], s2, v0, 0
	s_ashr_i32 s3, s2, 31
	s_lshl_b64 s[0:1], s[20:21], 4
	s_lshl_b64 s[4:5], s[10:11], 4
	;; [unrolled: 1-line block ×3, first 2 shown]
	s_add_u32 s12, s18, s12
	s_addc_u32 s13, s19, s13
	s_add_u32 s4, s12, s4
	s_addc_u32 s5, s13, s5
	s_add_u32 s0, s4, s0
	v_lshlrev_b64 v[2:3], 4, v[2:3]
	s_addc_u32 s1, s5, s1
	v_mov_b32_e32 v4, s1
	v_add_co_u32_e64 v2, s[0:1], s0, v2
	v_addc_co_u32_e64 v3, s[0:1], v4, v3, s[0:1]
	v_add_co_u32_e64 v6, s[0:1], 8, v2
	v_addc_co_u32_e64 v7, s[0:1], 0, v3, s[0:1]
	s_lshl_b64 s[12:13], s[2:3], 14
	v_pk_mov_b32 v[2:3], 0, 0
	s_mov_b64 s[4:5], 0
	v_mov_b32_e32 v9, s13
	v_mov_b32_e32 v10, v0
	v_pk_mov_b32 v[4:5], v[2:3], v[2:3] op_sel:[0,1]
.LBB54_4:                               ; =>This Inner Loop Header: Depth=1
	global_load_dwordx4 v[12:15], v[6:7], off offset:-8
	ds_read2_b64 v[16:19], v8 offset1:1
	v_add_co_u32_e64 v6, s[0:1], s12, v6
	v_add_u32_e32 v10, 0x400, v10
	v_addc_co_u32_e64 v7, s[0:1], v7, v9, s[0:1]
	v_cmp_le_i32_e64 s[0:1], s9, v10
	v_add_u32_e32 v8, 0x4000, v8
	s_or_b64 s[4:5], s[0:1], s[4:5]
	s_waitcnt vmcnt(0) lgkmcnt(0)
	v_mul_f64 v[20:21], v[18:19], v[14:15]
	v_mul_f64 v[14:15], v[16:17], v[14:15]
	v_fma_f64 v[16:17], v[16:17], v[12:13], -v[20:21]
	v_fmac_f64_e32 v[14:15], v[18:19], v[12:13]
	v_add_f64 v[4:5], v[4:5], v[16:17]
	v_add_f64 v[2:3], v[2:3], v[14:15]
	s_andn2_b64 exec, exec, s[4:5]
	s_cbranch_execnz .LBB54_4
; %bb.5:
	s_or_b64 exec, exec, s[4:5]
.LBB54_6:
	s_or_b64 exec, exec, s[22:23]
	v_mbcnt_lo_u32_b32 v6, -1, 0
	v_mbcnt_hi_u32_b32 v10, -1, v6
	v_and_b32_e32 v11, 63, v10
	v_cmp_ne_u32_e64 s[0:1], 63, v11
	v_addc_co_u32_e64 v6, s[0:1], 0, v10, s[0:1]
	v_lshlrev_b32_e32 v9, 2, v6
	ds_bpermute_b32 v6, v9, v4
	ds_bpermute_b32 v7, v9, v5
	ds_bpermute_b32 v8, v9, v2
	ds_bpermute_b32 v9, v9, v3
	v_cmp_gt_u32_e64 s[0:1], 62, v11
	s_waitcnt lgkmcnt(2)
	v_add_f64 v[4:5], v[4:5], v[6:7]
	v_cndmask_b32_e64 v6, 0, 1, s[0:1]
	v_lshlrev_b32_e32 v6, 1, v6
	s_waitcnt lgkmcnt(0)
	v_add_f64 v[2:3], v[2:3], v[8:9]
	v_add_lshl_u32 v9, v6, v10, 2
	ds_bpermute_b32 v6, v9, v4
	ds_bpermute_b32 v7, v9, v5
	ds_bpermute_b32 v8, v9, v2
	ds_bpermute_b32 v9, v9, v3
	v_cmp_gt_u32_e64 s[0:1], 60, v11
	s_waitcnt lgkmcnt(2)
	v_add_f64 v[4:5], v[4:5], v[6:7]
	v_cndmask_b32_e64 v6, 0, 1, s[0:1]
	v_lshlrev_b32_e32 v6, 2, v6
	s_waitcnt lgkmcnt(0)
	v_add_f64 v[2:3], v[2:3], v[8:9]
	v_add_lshl_u32 v9, v6, v10, 2
	;; [unrolled: 12-line block ×4, first 2 shown]
	ds_bpermute_b32 v6, v9, v4
	ds_bpermute_b32 v7, v9, v5
	;; [unrolled: 1-line block ×4, first 2 shown]
	v_cmp_gt_u32_e64 s[0:1], 32, v11
	s_waitcnt lgkmcnt(2)
	v_add_f64 v[4:5], v[4:5], v[6:7]
	s_waitcnt lgkmcnt(0)
	v_add_f64 v[6:7], v[2:3], v[8:9]
	v_cndmask_b32_e64 v2, 0, 1, s[0:1]
	v_lshlrev_b32_e32 v2, 5, v2
	v_add_lshl_u32 v9, v2, v10, 2
	ds_bpermute_b32 v2, v9, v4
	ds_bpermute_b32 v3, v9, v5
	;; [unrolled: 1-line block ×4, first 2 shown]
	s_waitcnt lgkmcnt(2)
	v_add_f64 v[2:3], v[4:5], v[2:3]
	s_waitcnt lgkmcnt(0)
	v_add_f64 v[4:5], v[6:7], v[8:9]
	v_and_b32_e32 v6, 63, v0
	v_cmp_eq_u32_e64 s[0:1], 0, v6
	s_and_saveexec_b64 s[4:5], s[0:1]
	s_cbranch_execz .LBB54_8
; %bb.7:
	v_lshrrev_b32_e32 v6, 2, v0
	v_add_u32_e32 v6, 0, v6
	ds_write2_b64 v6, v[2:3], v[4:5] offset1:1
.LBB54_8:
	s_or_b64 exec, exec, s[4:5]
	v_cmp_eq_u32_e64 s[0:1], 0, v0
	s_waitcnt lgkmcnt(0)
	s_barrier
	s_and_saveexec_b64 s[4:5], s[0:1]
	s_cbranch_execz .LBB54_10
; %bb.9:
	v_mov_b32_e32 v22, 0
	ds_read2_b64 v[6:9], v22 offset0:2 offset1:3
	ds_read2_b64 v[10:13], v22 offset0:4 offset1:5
	;; [unrolled: 1-line block ×4, first 2 shown]
	s_waitcnt lgkmcnt(3)
	v_add_f64 v[2:3], v[2:3], v[6:7]
	v_add_f64 v[4:5], v[4:5], v[8:9]
	s_waitcnt lgkmcnt(2)
	v_add_f64 v[2:3], v[2:3], v[10:11]
	v_add_f64 v[6:7], v[4:5], v[12:13]
	s_waitcnt lgkmcnt(1)
	v_add_f64 v[8:9], v[2:3], v[14:15]
	ds_read2_b64 v[2:5], v22 offset0:10 offset1:11
	v_add_f64 v[10:11], v[6:7], v[16:17]
	s_waitcnt lgkmcnt(1)
	v_add_f64 v[12:13], v[8:9], v[18:19]
	ds_read2_b64 v[6:9], v22 offset0:12 offset1:13
	;; [unrolled: 4-line block ×8, first 2 shown]
	v_add_f64 v[12:13], v[14:15], v[12:13]
	s_waitcnt lgkmcnt(1)
	v_add_f64 v[10:11], v[10:11], v[2:3]
	v_add_f64 v[14:15], v[12:13], v[4:5]
	ds_read2_b64 v[2:5], v22 offset0:26 offset1:27
	s_waitcnt lgkmcnt(1)
	v_add_f64 v[16:17], v[10:11], v[6:7]
	ds_read2_b64 v[10:13], v22 offset0:28 offset1:29
	v_add_f64 v[14:15], v[14:15], v[8:9]
	ds_read2_b64 v[6:9], v22 offset0:30 offset1:31
	s_waitcnt lgkmcnt(2)
	v_add_f64 v[2:3], v[16:17], v[2:3]
	v_add_f64 v[4:5], v[14:15], v[4:5]
	s_waitcnt lgkmcnt(1)
	v_add_f64 v[2:3], v[2:3], v[10:11]
	v_add_f64 v[4:5], v[4:5], v[12:13]
	;; [unrolled: 3-line block ×3, first 2 shown]
	ds_write2_b64 v22, v[2:3], v[4:5] offset1:1
.LBB54_10:
	s_or_b64 exec, exec, s[4:5]
	s_waitcnt lgkmcnt(0)
	s_barrier
	s_and_saveexec_b64 s[0:1], vcc
	s_cbranch_execz .LBB54_13
; %bb.11:
	s_mul_i32 s0, s8, s17
	s_mul_hi_u32 s1, s8, s16
	s_add_i32 s0, s1, s0
	s_mul_i32 s1, s29, s16
	s_add_i32 s1, s0, s1
	s_mul_i32 s0, s8, s16
	s_lshl_b64 s[0:1], s[0:1], 4
	s_add_u32 s0, s14, s0
	s_addc_u32 s1, s15, s1
	v_mov_b32_e32 v2, 0
	s_load_dwordx4 s[12:15], s[0:1], 0x0
	ds_read2_b64 v[4:7], v2 offset1:1
	s_add_i32 s0, s27, s26
	s_add_i32 s21, s0, s28
	s_ashr_i32 s3, s2, 31
	s_lshl_b64 s[0:1], s[20:21], 4
	s_waitcnt lgkmcnt(0)
	v_mul_f64 v[2:3], s[12:13], v[4:5]
	v_fma_f64 v[2:3], s[14:15], v[6:7], -v[2:3]
	v_mul_f64 v[6:7], s[12:13], v[6:7]
	v_fma_f64 v[4:5], v[4:5], -s[14:15], -v[6:7]
	v_mad_i64_i32 v[6:7], s[4:5], s2, v0, 0
	s_lshl_b64 s[4:5], s[10:11], 4
	s_lshl_b64 s[6:7], s[6:7], 4
	s_add_u32 s6, s18, s6
	s_addc_u32 s7, s19, s7
	s_add_u32 s4, s6, s4
	s_addc_u32 s5, s7, s5
	s_add_u32 s0, s4, s0
	v_lshlrev_b64 v[6:7], 4, v[6:7]
	s_addc_u32 s1, s5, s1
	v_mov_b32_e32 v8, s1
	v_add_co_u32_e32 v6, vcc, s0, v6
	v_addc_co_u32_e32 v7, vcc, v8, v7, vcc
	v_add_co_u32_e32 v6, vcc, 8, v6
	s_lshl_b64 s[0:1], s[2:3], 14
	v_add_u32_e32 v1, 0x100, v1
	v_addc_co_u32_e32 v7, vcc, 0, v7, vcc
	s_mov_b64 s[2:3], 0
	v_mov_b32_e32 v8, s1
.LBB54_12:                              ; =>This Inner Loop Header: Depth=1
	global_load_dwordx4 v[10:13], v[6:7], off offset:-8
	ds_read2_b64 v[14:17], v1 offset1:1
	v_add_u32_e32 v0, 0x400, v0
	v_cmp_le_i32_e32 vcc, s9, v0
	s_or_b64 s[2:3], vcc, s[2:3]
	v_add_u32_e32 v1, 0x4000, v1
	s_waitcnt lgkmcnt(0)
	v_mul_f64 v[18:19], v[4:5], v[16:17]
	v_mul_f64 v[16:17], v[2:3], v[16:17]
	v_fmac_f64_e32 v[18:19], v[2:3], v[14:15]
	v_fma_f64 v[14:15], v[4:5], v[14:15], -v[16:17]
	s_waitcnt vmcnt(0)
	v_add_f64 v[10:11], v[10:11], v[18:19]
	v_add_f64 v[12:13], v[12:13], v[14:15]
	global_store_dwordx4 v[6:7], v[10:13], off offset:-8
	v_add_co_u32_e32 v6, vcc, s0, v6
	v_addc_co_u32_e32 v7, vcc, v7, v8, vcc
	s_andn2_b64 exec, exec, s[2:3]
	s_cbranch_execnz .LBB54_12
.LBB54_13:
	s_endpgm
	.section	.rodata,"a",@progbits
	.p2align	6, 0x0
	.amdhsa_kernel _ZN9rocsolver6v33100L17larf_right_kernelILi1024E19rocblas_complex_numIdEiPS3_EEvT1_S5_T2_lS5_lPKT0_lS6_lS5_l
		.amdhsa_group_segment_fixed_size 0
		.amdhsa_private_segment_fixed_size 0
		.amdhsa_kernarg_size 88
		.amdhsa_user_sgpr_count 6
		.amdhsa_user_sgpr_private_segment_buffer 1
		.amdhsa_user_sgpr_dispatch_ptr 0
		.amdhsa_user_sgpr_queue_ptr 0
		.amdhsa_user_sgpr_kernarg_segment_ptr 1
		.amdhsa_user_sgpr_dispatch_id 0
		.amdhsa_user_sgpr_flat_scratch_init 0
		.amdhsa_user_sgpr_kernarg_preload_length 0
		.amdhsa_user_sgpr_kernarg_preload_offset 0
		.amdhsa_user_sgpr_private_segment_size 0
		.amdhsa_uses_dynamic_stack 0
		.amdhsa_system_sgpr_private_segment_wavefront_offset 0
		.amdhsa_system_sgpr_workgroup_id_x 1
		.amdhsa_system_sgpr_workgroup_id_y 1
		.amdhsa_system_sgpr_workgroup_id_z 1
		.amdhsa_system_sgpr_workgroup_info 0
		.amdhsa_system_vgpr_workitem_id 0
		.amdhsa_next_free_vgpr 23
		.amdhsa_next_free_sgpr 40
		.amdhsa_accum_offset 24
		.amdhsa_reserve_vcc 1
		.amdhsa_reserve_flat_scratch 0
		.amdhsa_float_round_mode_32 0
		.amdhsa_float_round_mode_16_64 0
		.amdhsa_float_denorm_mode_32 3
		.amdhsa_float_denorm_mode_16_64 3
		.amdhsa_dx10_clamp 1
		.amdhsa_ieee_mode 1
		.amdhsa_fp16_overflow 0
		.amdhsa_tg_split 0
		.amdhsa_exception_fp_ieee_invalid_op 0
		.amdhsa_exception_fp_denorm_src 0
		.amdhsa_exception_fp_ieee_div_zero 0
		.amdhsa_exception_fp_ieee_overflow 0
		.amdhsa_exception_fp_ieee_underflow 0
		.amdhsa_exception_fp_ieee_inexact 0
		.amdhsa_exception_int_div_zero 0
	.end_amdhsa_kernel
	.section	.text._ZN9rocsolver6v33100L17larf_right_kernelILi1024E19rocblas_complex_numIdEiPS3_EEvT1_S5_T2_lS5_lPKT0_lS6_lS5_l,"axG",@progbits,_ZN9rocsolver6v33100L17larf_right_kernelILi1024E19rocblas_complex_numIdEiPS3_EEvT1_S5_T2_lS5_lPKT0_lS6_lS5_l,comdat
.Lfunc_end54:
	.size	_ZN9rocsolver6v33100L17larf_right_kernelILi1024E19rocblas_complex_numIdEiPS3_EEvT1_S5_T2_lS5_lPKT0_lS6_lS5_l, .Lfunc_end54-_ZN9rocsolver6v33100L17larf_right_kernelILi1024E19rocblas_complex_numIdEiPS3_EEvT1_S5_T2_lS5_lPKT0_lS6_lS5_l
                                        ; -- End function
	.section	.AMDGPU.csdata,"",@progbits
; Kernel info:
; codeLenInByte = 1964
; NumSgprs: 44
; NumVgprs: 23
; NumAgprs: 0
; TotalNumVgprs: 23
; ScratchSize: 0
; MemoryBound: 0
; FloatMode: 240
; IeeeMode: 1
; LDSByteSize: 0 bytes/workgroup (compile time only)
; SGPRBlocks: 5
; VGPRBlocks: 2
; NumSGPRsForWavesPerEU: 44
; NumVGPRsForWavesPerEU: 23
; AccumOffset: 24
; Occupancy: 8
; WaveLimiterHint : 0
; COMPUTE_PGM_RSRC2:SCRATCH_EN: 0
; COMPUTE_PGM_RSRC2:USER_SGPR: 6
; COMPUTE_PGM_RSRC2:TRAP_HANDLER: 0
; COMPUTE_PGM_RSRC2:TGID_X_EN: 1
; COMPUTE_PGM_RSRC2:TGID_Y_EN: 1
; COMPUTE_PGM_RSRC2:TGID_Z_EN: 1
; COMPUTE_PGM_RSRC2:TIDIG_COMP_CNT: 0
; COMPUTE_PGM_RSRC3_GFX90A:ACCUM_OFFSET: 5
; COMPUTE_PGM_RSRC3_GFX90A:TG_SPLIT: 0
	.section	.text._ZN9rocsolver6v33100L12subtract_tauI19rocblas_complex_numIdEPS3_EEviiT0_iilPT_l,"axG",@progbits,_ZN9rocsolver6v33100L12subtract_tauI19rocblas_complex_numIdEPS3_EEviiT0_iilPT_l,comdat
	.globl	_ZN9rocsolver6v33100L12subtract_tauI19rocblas_complex_numIdEPS3_EEviiT0_iilPT_l ; -- Begin function _ZN9rocsolver6v33100L12subtract_tauI19rocblas_complex_numIdEPS3_EEviiT0_iilPT_l
	.p2align	8
	.type	_ZN9rocsolver6v33100L12subtract_tauI19rocblas_complex_numIdEPS3_EEviiT0_iilPT_l,@function
_ZN9rocsolver6v33100L12subtract_tauI19rocblas_complex_numIdEPS3_EEviiT0_iilPT_l: ; @_ZN9rocsolver6v33100L12subtract_tauI19rocblas_complex_numIdEPS3_EEviiT0_iilPT_l
; %bb.0:
	s_load_dwordx2 s[12:13], s[4:5], 0x10
	s_load_dwordx4 s[8:11], s[4:5], 0x18
	s_load_dwordx4 s[0:3], s[4:5], 0x0
	s_load_dwordx2 s[14:15], s[4:5], 0x28
	v_mov_b32_e32 v4, 0
	s_waitcnt lgkmcnt(0)
	s_ashr_i32 s5, s12, 31
	s_mul_i32 s7, s6, s9
	s_mul_hi_u32 s9, s6, s8
	s_add_i32 s9, s9, s7
	s_mul_i32 s8, s6, s8
	s_lshl_b64 s[8:9], s[8:9], 4
	s_mov_b32 s4, s12
	s_add_u32 s7, s2, s8
	s_addc_u32 s8, s3, s9
	s_lshl_b64 s[2:3], s[4:5], 4
	s_add_u32 s9, s7, s2
	s_addc_u32 s8, s8, s3
	s_mul_i32 s2, s6, s15
	s_mul_hi_u32 s3, s6, s14
	s_add_i32 s3, s3, s2
	s_mul_i32 s2, s6, s14
	s_lshl_b64 s[2:3], s[2:3], 4
	s_add_u32 s2, s10, s2
	s_addc_u32 s3, s11, s3
	s_load_dwordx4 s[4:7], s[2:3], 0x0
	s_mul_i32 s1, s13, s1
	s_add_i32 s0, s1, s0
	s_ashr_i32 s1, s0, 31
	s_lshl_b64 s[0:1], s[0:1], 4
	s_waitcnt lgkmcnt(0)
	s_xor_b32 s10, s5, 0x80000000
	s_xor_b32 s7, s7, 0x80000000
	v_mov_b32_e32 v0, s4
	v_mov_b32_e32 v1, s10
	;; [unrolled: 1-line block ×4, first 2 shown]
	s_add_u32 s0, s9, s0
	global_store_dwordx4 v4, v[0:3], s[2:3]
	s_addc_u32 s1, s8, s1
	v_add_f64 v[0:1], -s[4:5], 1.0
	global_store_dwordx4 v4, v[0:3], s[0:1]
	s_endpgm
	.section	.rodata,"a",@progbits
	.p2align	6, 0x0
	.amdhsa_kernel _ZN9rocsolver6v33100L12subtract_tauI19rocblas_complex_numIdEPS3_EEviiT0_iilPT_l
		.amdhsa_group_segment_fixed_size 0
		.amdhsa_private_segment_fixed_size 0
		.amdhsa_kernarg_size 48
		.amdhsa_user_sgpr_count 6
		.amdhsa_user_sgpr_private_segment_buffer 1
		.amdhsa_user_sgpr_dispatch_ptr 0
		.amdhsa_user_sgpr_queue_ptr 0
		.amdhsa_user_sgpr_kernarg_segment_ptr 1
		.amdhsa_user_sgpr_dispatch_id 0
		.amdhsa_user_sgpr_flat_scratch_init 0
		.amdhsa_user_sgpr_kernarg_preload_length 0
		.amdhsa_user_sgpr_kernarg_preload_offset 0
		.amdhsa_user_sgpr_private_segment_size 0
		.amdhsa_uses_dynamic_stack 0
		.amdhsa_system_sgpr_private_segment_wavefront_offset 0
		.amdhsa_system_sgpr_workgroup_id_x 1
		.amdhsa_system_sgpr_workgroup_id_y 0
		.amdhsa_system_sgpr_workgroup_id_z 0
		.amdhsa_system_sgpr_workgroup_info 0
		.amdhsa_system_vgpr_workitem_id 0
		.amdhsa_next_free_vgpr 5
		.amdhsa_next_free_sgpr 16
		.amdhsa_accum_offset 8
		.amdhsa_reserve_vcc 0
		.amdhsa_reserve_flat_scratch 0
		.amdhsa_float_round_mode_32 0
		.amdhsa_float_round_mode_16_64 0
		.amdhsa_float_denorm_mode_32 3
		.amdhsa_float_denorm_mode_16_64 3
		.amdhsa_dx10_clamp 1
		.amdhsa_ieee_mode 1
		.amdhsa_fp16_overflow 0
		.amdhsa_tg_split 0
		.amdhsa_exception_fp_ieee_invalid_op 0
		.amdhsa_exception_fp_denorm_src 0
		.amdhsa_exception_fp_ieee_div_zero 0
		.amdhsa_exception_fp_ieee_overflow 0
		.amdhsa_exception_fp_ieee_underflow 0
		.amdhsa_exception_fp_ieee_inexact 0
		.amdhsa_exception_int_div_zero 0
	.end_amdhsa_kernel
	.section	.text._ZN9rocsolver6v33100L12subtract_tauI19rocblas_complex_numIdEPS3_EEviiT0_iilPT_l,"axG",@progbits,_ZN9rocsolver6v33100L12subtract_tauI19rocblas_complex_numIdEPS3_EEviiT0_iilPT_l,comdat
.Lfunc_end55:
	.size	_ZN9rocsolver6v33100L12subtract_tauI19rocblas_complex_numIdEPS3_EEviiT0_iilPT_l, .Lfunc_end55-_ZN9rocsolver6v33100L12subtract_tauI19rocblas_complex_numIdEPS3_EEviiT0_iilPT_l
                                        ; -- End function
	.section	.AMDGPU.csdata,"",@progbits
; Kernel info:
; codeLenInByte = 212
; NumSgprs: 20
; NumVgprs: 5
; NumAgprs: 0
; TotalNumVgprs: 5
; ScratchSize: 0
; MemoryBound: 0
; FloatMode: 240
; IeeeMode: 1
; LDSByteSize: 0 bytes/workgroup (compile time only)
; SGPRBlocks: 2
; VGPRBlocks: 0
; NumSGPRsForWavesPerEU: 20
; NumVGPRsForWavesPerEU: 5
; AccumOffset: 8
; Occupancy: 8
; WaveLimiterHint : 0
; COMPUTE_PGM_RSRC2:SCRATCH_EN: 0
; COMPUTE_PGM_RSRC2:USER_SGPR: 6
; COMPUTE_PGM_RSRC2:TRAP_HANDLER: 0
; COMPUTE_PGM_RSRC2:TGID_X_EN: 1
; COMPUTE_PGM_RSRC2:TGID_Y_EN: 0
; COMPUTE_PGM_RSRC2:TGID_Z_EN: 0
; COMPUTE_PGM_RSRC2:TIDIG_COMP_CNT: 0
; COMPUTE_PGM_RSRC3_GFX90A:ACCUM_OFFSET: 1
; COMPUTE_PGM_RSRC3_GFX90A:TG_SPLIT: 0
	.section	.text._ZN9rocsolver6v33100L6restauI19rocblas_complex_numIdEEEviPT_l,"axG",@progbits,_ZN9rocsolver6v33100L6restauI19rocblas_complex_numIdEEEviPT_l,comdat
	.globl	_ZN9rocsolver6v33100L6restauI19rocblas_complex_numIdEEEviPT_l ; -- Begin function _ZN9rocsolver6v33100L6restauI19rocblas_complex_numIdEEEviPT_l
	.p2align	8
	.type	_ZN9rocsolver6v33100L6restauI19rocblas_complex_numIdEEEviPT_l,@function
_ZN9rocsolver6v33100L6restauI19rocblas_complex_numIdEEEviPT_l: ; @_ZN9rocsolver6v33100L6restauI19rocblas_complex_numIdEEEviPT_l
; %bb.0:
	s_load_dword s0, s[4:5], 0x24
	s_load_dword s1, s[4:5], 0x0
	s_waitcnt lgkmcnt(0)
	s_and_b32 s0, s0, 0xffff
	s_mul_i32 s6, s6, s0
	v_add_u32_e32 v0, s6, v0
	v_cmp_gt_u32_e32 vcc, s1, v0
	s_and_saveexec_b64 s[0:1], vcc
	s_cbranch_execz .LBB56_2
; %bb.1:
	s_load_dwordx4 s[0:3], s[4:5], 0x8
	v_mov_b32_e32 v1, 0
	v_lshlrev_b64 v[0:1], 4, v[0:1]
	s_waitcnt lgkmcnt(0)
	s_mul_i32 s3, s7, s3
	s_mul_hi_u32 s4, s7, s2
	s_mul_i32 s2, s7, s2
	s_add_i32 s3, s4, s3
	s_lshl_b64 s[2:3], s[2:3], 4
	s_add_u32 s0, s0, s2
	s_addc_u32 s1, s1, s3
	v_mov_b32_e32 v2, s1
	v_add_co_u32_e32 v4, vcc, s0, v0
	v_addc_co_u32_e32 v5, vcc, v2, v1, vcc
	global_load_dwordx4 v[0:3], v[4:5], off
	s_waitcnt vmcnt(0)
	v_xor_b32_e32 v1, 0x80000000, v1
	v_xor_b32_e32 v3, 0x80000000, v3
	global_store_dwordx4 v[4:5], v[0:3], off
.LBB56_2:
	s_endpgm
	.section	.rodata,"a",@progbits
	.p2align	6, 0x0
	.amdhsa_kernel _ZN9rocsolver6v33100L6restauI19rocblas_complex_numIdEEEviPT_l
		.amdhsa_group_segment_fixed_size 0
		.amdhsa_private_segment_fixed_size 0
		.amdhsa_kernarg_size 280
		.amdhsa_user_sgpr_count 6
		.amdhsa_user_sgpr_private_segment_buffer 1
		.amdhsa_user_sgpr_dispatch_ptr 0
		.amdhsa_user_sgpr_queue_ptr 0
		.amdhsa_user_sgpr_kernarg_segment_ptr 1
		.amdhsa_user_sgpr_dispatch_id 0
		.amdhsa_user_sgpr_flat_scratch_init 0
		.amdhsa_user_sgpr_kernarg_preload_length 0
		.amdhsa_user_sgpr_kernarg_preload_offset 0
		.amdhsa_user_sgpr_private_segment_size 0
		.amdhsa_uses_dynamic_stack 0
		.amdhsa_system_sgpr_private_segment_wavefront_offset 0
		.amdhsa_system_sgpr_workgroup_id_x 1
		.amdhsa_system_sgpr_workgroup_id_y 1
		.amdhsa_system_sgpr_workgroup_id_z 0
		.amdhsa_system_sgpr_workgroup_info 0
		.amdhsa_system_vgpr_workitem_id 0
		.amdhsa_next_free_vgpr 6
		.amdhsa_next_free_sgpr 8
		.amdhsa_accum_offset 8
		.amdhsa_reserve_vcc 1
		.amdhsa_reserve_flat_scratch 0
		.amdhsa_float_round_mode_32 0
		.amdhsa_float_round_mode_16_64 0
		.amdhsa_float_denorm_mode_32 3
		.amdhsa_float_denorm_mode_16_64 3
		.amdhsa_dx10_clamp 1
		.amdhsa_ieee_mode 1
		.amdhsa_fp16_overflow 0
		.amdhsa_tg_split 0
		.amdhsa_exception_fp_ieee_invalid_op 0
		.amdhsa_exception_fp_denorm_src 0
		.amdhsa_exception_fp_ieee_div_zero 0
		.amdhsa_exception_fp_ieee_overflow 0
		.amdhsa_exception_fp_ieee_underflow 0
		.amdhsa_exception_fp_ieee_inexact 0
		.amdhsa_exception_int_div_zero 0
	.end_amdhsa_kernel
	.section	.text._ZN9rocsolver6v33100L6restauI19rocblas_complex_numIdEEEviPT_l,"axG",@progbits,_ZN9rocsolver6v33100L6restauI19rocblas_complex_numIdEEEviPT_l,comdat
.Lfunc_end56:
	.size	_ZN9rocsolver6v33100L6restauI19rocblas_complex_numIdEEEviPT_l, .Lfunc_end56-_ZN9rocsolver6v33100L6restauI19rocblas_complex_numIdEEEviPT_l
                                        ; -- End function
	.section	.AMDGPU.csdata,"",@progbits
; Kernel info:
; codeLenInByte = 152
; NumSgprs: 12
; NumVgprs: 6
; NumAgprs: 0
; TotalNumVgprs: 6
; ScratchSize: 0
; MemoryBound: 0
; FloatMode: 240
; IeeeMode: 1
; LDSByteSize: 0 bytes/workgroup (compile time only)
; SGPRBlocks: 1
; VGPRBlocks: 0
; NumSGPRsForWavesPerEU: 12
; NumVGPRsForWavesPerEU: 6
; AccumOffset: 8
; Occupancy: 8
; WaveLimiterHint : 0
; COMPUTE_PGM_RSRC2:SCRATCH_EN: 0
; COMPUTE_PGM_RSRC2:USER_SGPR: 6
; COMPUTE_PGM_RSRC2:TRAP_HANDLER: 0
; COMPUTE_PGM_RSRC2:TGID_X_EN: 1
; COMPUTE_PGM_RSRC2:TGID_Y_EN: 1
; COMPUTE_PGM_RSRC2:TGID_Z_EN: 0
; COMPUTE_PGM_RSRC2:TIDIG_COMP_CNT: 0
; COMPUTE_PGM_RSRC3_GFX90A:ACCUM_OFFSET: 1
; COMPUTE_PGM_RSRC3_GFX90A:TG_SPLIT: 0
	.section	.text._ZN9rocsolver6v33100L8set_zeroI19rocblas_complex_numIdEPS3_EEviiT0_iil13rocblas_fill_,"axG",@progbits,_ZN9rocsolver6v33100L8set_zeroI19rocblas_complex_numIdEPS3_EEviiT0_iil13rocblas_fill_,comdat
	.globl	_ZN9rocsolver6v33100L8set_zeroI19rocblas_complex_numIdEPS3_EEviiT0_iil13rocblas_fill_ ; -- Begin function _ZN9rocsolver6v33100L8set_zeroI19rocblas_complex_numIdEPS3_EEviiT0_iil13rocblas_fill_
	.p2align	8
	.type	_ZN9rocsolver6v33100L8set_zeroI19rocblas_complex_numIdEPS3_EEviiT0_iil13rocblas_fill_,@function
_ZN9rocsolver6v33100L8set_zeroI19rocblas_complex_numIdEPS3_EEviiT0_iil13rocblas_fill_: ; @_ZN9rocsolver6v33100L8set_zeroI19rocblas_complex_numIdEPS3_EEviiT0_iil13rocblas_fill_
; %bb.0:
	s_load_dword s2, s[4:5], 0x34
	s_load_dwordx2 s[0:1], s[4:5], 0x0
	v_and_b32_e32 v1, 0x3ff, v0
	v_bfe_u32 v0, v0, 10, 10
	s_waitcnt lgkmcnt(0)
	s_lshr_b32 s3, s2, 16
	s_and_b32 s2, s2, 0xffff
	s_mul_i32 s6, s6, s2
	s_mul_i32 s7, s7, s3
	v_add_u32_e32 v2, s6, v1
	v_add_u32_e32 v0, s7, v0
	v_cmp_gt_u32_e32 vcc, s0, v2
	v_cmp_gt_u32_e64 s[0:1], s1, v0
	s_and_b64 s[0:1], vcc, s[0:1]
	s_and_saveexec_b64 s[2:3], s[0:1]
	s_cbranch_execz .LBB57_12
; %bb.1:
	s_load_dword s6, s[4:5], 0x20
	s_waitcnt lgkmcnt(0)
	s_cmpk_lt_i32 s6, 0x7a
	s_cbranch_scc1 .LBB57_4
; %bb.2:
	s_cmpk_gt_i32 s6, 0x7a
	s_cbranch_scc0 .LBB57_5
; %bb.3:
	s_cmpk_eq_i32 s6, 0x7b
	s_cselect_b64 s[0:1], -1, 0
	s_cbranch_execz .LBB57_6
	s_branch .LBB57_7
.LBB57_4:
	s_mov_b64 s[0:1], 0
	s_cbranch_execnz .LBB57_8
	s_branch .LBB57_10
.LBB57_5:
	s_mov_b64 s[0:1], 0
.LBB57_6:
	v_cmp_gt_u32_e32 vcc, v0, v2
	s_andn2_b64 s[0:1], s[0:1], exec
	s_and_b64 s[2:3], vcc, exec
	s_or_b64 s[0:1], s[0:1], s[2:3]
.LBB57_7:
	s_branch .LBB57_10
.LBB57_8:
	s_cmpk_eq_i32 s6, 0x79
	s_cbranch_scc0 .LBB57_10
; %bb.9:
	v_cmp_gt_u32_e32 vcc, v2, v0
	s_andn2_b64 s[0:1], s[0:1], exec
	s_and_b64 s[2:3], vcc, exec
	s_or_b64 s[0:1], s[0:1], s[2:3]
.LBB57_10:
	s_and_b64 exec, exec, s[0:1]
	s_cbranch_execz .LBB57_12
; %bb.11:
	s_load_dwordx4 s[0:3], s[4:5], 0x8
	s_load_dwordx2 s[6:7], s[4:5], 0x18
	s_waitcnt lgkmcnt(0)
	s_ashr_i32 s5, s2, 31
	s_mov_b32 s4, s2
	s_mul_i32 s2, s8, s7
	s_mul_hi_u32 s7, s8, s6
	s_add_i32 s7, s7, s2
	s_mul_i32 s6, s8, s6
	s_lshl_b64 s[6:7], s[6:7], 4
	s_add_u32 s2, s0, s6
	s_addc_u32 s6, s1, s7
	s_lshl_b64 s[0:1], s[4:5], 4
	s_add_u32 s2, s2, s0
	s_addc_u32 s4, s6, s1
	v_mad_u64_u32 v[0:1], s[0:1], v0, s3, v[2:3]
	v_mov_b32_e32 v1, 0
	v_lshlrev_b64 v[2:3], 4, v[0:1]
	v_mov_b32_e32 v0, s4
	v_add_co_u32_e32 v4, vcc, s2, v2
	v_addc_co_u32_e32 v5, vcc, v0, v3, vcc
	v_mov_b32_e32 v0, v1
	v_mov_b32_e32 v2, v1
	;; [unrolled: 1-line block ×3, first 2 shown]
	global_store_dwordx4 v[4:5], v[0:3], off
.LBB57_12:
	s_endpgm
	.section	.rodata,"a",@progbits
	.p2align	6, 0x0
	.amdhsa_kernel _ZN9rocsolver6v33100L8set_zeroI19rocblas_complex_numIdEPS3_EEviiT0_iil13rocblas_fill_
		.amdhsa_group_segment_fixed_size 0
		.amdhsa_private_segment_fixed_size 0
		.amdhsa_kernarg_size 296
		.amdhsa_user_sgpr_count 6
		.amdhsa_user_sgpr_private_segment_buffer 1
		.amdhsa_user_sgpr_dispatch_ptr 0
		.amdhsa_user_sgpr_queue_ptr 0
		.amdhsa_user_sgpr_kernarg_segment_ptr 1
		.amdhsa_user_sgpr_dispatch_id 0
		.amdhsa_user_sgpr_flat_scratch_init 0
		.amdhsa_user_sgpr_kernarg_preload_length 0
		.amdhsa_user_sgpr_kernarg_preload_offset 0
		.amdhsa_user_sgpr_private_segment_size 0
		.amdhsa_uses_dynamic_stack 0
		.amdhsa_system_sgpr_private_segment_wavefront_offset 0
		.amdhsa_system_sgpr_workgroup_id_x 1
		.amdhsa_system_sgpr_workgroup_id_y 1
		.amdhsa_system_sgpr_workgroup_id_z 1
		.amdhsa_system_sgpr_workgroup_info 0
		.amdhsa_system_vgpr_workitem_id 1
		.amdhsa_next_free_vgpr 6
		.amdhsa_next_free_sgpr 9
		.amdhsa_accum_offset 8
		.amdhsa_reserve_vcc 1
		.amdhsa_reserve_flat_scratch 0
		.amdhsa_float_round_mode_32 0
		.amdhsa_float_round_mode_16_64 0
		.amdhsa_float_denorm_mode_32 3
		.amdhsa_float_denorm_mode_16_64 3
		.amdhsa_dx10_clamp 1
		.amdhsa_ieee_mode 1
		.amdhsa_fp16_overflow 0
		.amdhsa_tg_split 0
		.amdhsa_exception_fp_ieee_invalid_op 0
		.amdhsa_exception_fp_denorm_src 0
		.amdhsa_exception_fp_ieee_div_zero 0
		.amdhsa_exception_fp_ieee_overflow 0
		.amdhsa_exception_fp_ieee_underflow 0
		.amdhsa_exception_fp_ieee_inexact 0
		.amdhsa_exception_int_div_zero 0
	.end_amdhsa_kernel
	.section	.text._ZN9rocsolver6v33100L8set_zeroI19rocblas_complex_numIdEPS3_EEviiT0_iil13rocblas_fill_,"axG",@progbits,_ZN9rocsolver6v33100L8set_zeroI19rocblas_complex_numIdEPS3_EEviiT0_iil13rocblas_fill_,comdat
.Lfunc_end57:
	.size	_ZN9rocsolver6v33100L8set_zeroI19rocblas_complex_numIdEPS3_EEviiT0_iil13rocblas_fill_, .Lfunc_end57-_ZN9rocsolver6v33100L8set_zeroI19rocblas_complex_numIdEPS3_EEviiT0_iil13rocblas_fill_
                                        ; -- End function
	.section	.AMDGPU.csdata,"",@progbits
; Kernel info:
; codeLenInByte = 324
; NumSgprs: 13
; NumVgprs: 6
; NumAgprs: 0
; TotalNumVgprs: 6
; ScratchSize: 0
; MemoryBound: 0
; FloatMode: 240
; IeeeMode: 1
; LDSByteSize: 0 bytes/workgroup (compile time only)
; SGPRBlocks: 1
; VGPRBlocks: 0
; NumSGPRsForWavesPerEU: 13
; NumVGPRsForWavesPerEU: 6
; AccumOffset: 8
; Occupancy: 8
; WaveLimiterHint : 0
; COMPUTE_PGM_RSRC2:SCRATCH_EN: 0
; COMPUTE_PGM_RSRC2:USER_SGPR: 6
; COMPUTE_PGM_RSRC2:TRAP_HANDLER: 0
; COMPUTE_PGM_RSRC2:TGID_X_EN: 1
; COMPUTE_PGM_RSRC2:TGID_Y_EN: 1
; COMPUTE_PGM_RSRC2:TGID_Z_EN: 1
; COMPUTE_PGM_RSRC2:TIDIG_COMP_CNT: 1
; COMPUTE_PGM_RSRC3_GFX90A:ACCUM_OFFSET: 1
; COMPUTE_PGM_RSRC3_GFX90A:TG_SPLIT: 0
	.section	.text._ZN9rocsolver6v33100L14set_triangularI19rocblas_complex_numIdEPS3_TnNSt9enable_ifIX18rocblas_is_complexIT_EEiE4typeELi0EEEviiT0_iilPS6_lSA_il15rocblas_direct_15rocblas_storev_b,"axG",@progbits,_ZN9rocsolver6v33100L14set_triangularI19rocblas_complex_numIdEPS3_TnNSt9enable_ifIX18rocblas_is_complexIT_EEiE4typeELi0EEEviiT0_iilPS6_lSA_il15rocblas_direct_15rocblas_storev_b,comdat
	.globl	_ZN9rocsolver6v33100L14set_triangularI19rocblas_complex_numIdEPS3_TnNSt9enable_ifIX18rocblas_is_complexIT_EEiE4typeELi0EEEviiT0_iilPS6_lSA_il15rocblas_direct_15rocblas_storev_b ; -- Begin function _ZN9rocsolver6v33100L14set_triangularI19rocblas_complex_numIdEPS3_TnNSt9enable_ifIX18rocblas_is_complexIT_EEiE4typeELi0EEEviiT0_iilPS6_lSA_il15rocblas_direct_15rocblas_storev_b
	.p2align	8
	.type	_ZN9rocsolver6v33100L14set_triangularI19rocblas_complex_numIdEPS3_TnNSt9enable_ifIX18rocblas_is_complexIT_EEiE4typeELi0EEEviiT0_iilPS6_lSA_il15rocblas_direct_15rocblas_storev_b,@function
_ZN9rocsolver6v33100L14set_triangularI19rocblas_complex_numIdEPS3_TnNSt9enable_ifIX18rocblas_is_complexIT_EEiE4typeELi0EEEviiT0_iilPS6_lSA_il15rocblas_direct_15rocblas_storev_b: ; @_ZN9rocsolver6v33100L14set_triangularI19rocblas_complex_numIdEPS3_TnNSt9enable_ifIX18rocblas_is_complexIT_EEiE4typeELi0EEEviiT0_iilPS6_lSA_il15rocblas_direct_15rocblas_storev_b
; %bb.0:
	s_load_dword s0, s[4:5], 0x64
	s_load_dwordx2 s[20:21], s[4:5], 0x0
	v_and_b32_e32 v1, 0x3ff, v0
	v_bfe_u32 v0, v0, 10, 10
	s_waitcnt lgkmcnt(0)
	s_lshr_b32 s1, s0, 16
	s_and_b32 s0, s0, 0xffff
	s_mul_i32 s6, s6, s0
	s_mul_i32 s7, s7, s1
	v_add_u32_e32 v6, s6, v1
	v_add_u32_e32 v0, s7, v0
	v_max_u32_e32 v1, v6, v0
	v_cmp_gt_u32_e32 vcc, s21, v1
	s_and_saveexec_b64 s[0:1], vcc
	s_cbranch_execz .LBB58_36
; %bb.1:
	s_load_dwordx8 s[12:19], s[4:5], 0x18
	s_load_dword s22, s[4:5], 0x38
	s_load_dwordx2 s[0:1], s[4:5], 0x40
	v_cmp_ne_u32_e32 vcc, v0, v6
	s_waitcnt lgkmcnt(0)
	s_mul_i32 s3, s8, s17
	s_mul_hi_u32 s6, s8, s16
	s_mul_i32 s2, s8, s16
	s_add_i32 s3, s6, s3
	s_lshl_b64 s[2:3], s[2:3], 4
	s_add_u32 s16, s14, s2
	s_mul_i32 s1, s8, s1
	s_mul_hi_u32 s2, s8, s0
	s_addc_u32 s17, s15, s3
	s_add_i32 s1, s2, s1
	s_mul_i32 s0, s8, s0
	s_lshl_b64 s[0:1], s[0:1], 4
	s_add_u32 s14, s18, s0
	s_addc_u32 s15, s19, s1
	s_and_saveexec_b64 s[0:1], vcc
	s_xor_b64 s[10:11], exec, s[0:1]
	s_cbranch_execz .LBB58_34
; %bb.2:
	s_load_dwordx4 s[0:3], s[4:5], 0x8
	s_mul_i32 s9, s8, s13
	s_mul_hi_u32 s13, s8, s12
	s_add_i32 s9, s13, s9
	s_mul_i32 s8, s8, s12
	s_load_dwordx4 s[4:7], s[4:5], 0x48
	s_waitcnt lgkmcnt(0)
	s_ashr_i32 s19, s2, 31
	s_lshl_b64 s[8:9], s[8:9], 4
	s_mov_b32 s18, s2
	s_add_u32 s2, s0, s8
	s_addc_u32 s7, s1, s9
	s_lshl_b64 s[0:1], s[18:19], 4
	s_add_u32 s2, s2, s0
	s_addc_u32 s12, s7, s1
	s_bitcmp1_b32 s6, 0
	s_cselect_b64 s[0:1], -1, 0
	s_xor_b64 s[0:1], s[0:1], -1
	s_mov_b64 s[6:7], -1
	s_cmpk_lg_i32 s4, 0xab
	v_mov_b32_e32 v7, 0
	s_cbranch_scc0 .LBB58_18
; %bb.3:
	v_cmp_le_u32_e32 vcc, v0, v6
	s_and_saveexec_b64 s[6:7], vcc
	s_xor_b64 s[6:7], exec, s[6:7]
	s_cbranch_execz .LBB58_5
; %bb.4:
	v_mad_u64_u32 v[2:3], s[8:9], v6, s22, 0
	s_ashr_i32 s4, s22, 31
	v_mov_b32_e32 v4, v3
	v_mad_u64_u32 v[4:5], s[8:9], v6, s4, v[4:5]
	v_mov_b32_e32 v3, v4
	v_lshlrev_b64 v[2:3], 4, v[2:3]
	v_mov_b32_e32 v1, 0
	v_mov_b32_e32 v4, s15
	v_add_co_u32_e32 v5, vcc, s14, v2
	v_addc_co_u32_e32 v4, vcc, v4, v3, vcc
	v_lshlrev_b64 v[2:3], 4, v[0:1]
	v_add_co_u32_e32 v8, vcc, v5, v2
	v_addc_co_u32_e32 v9, vcc, v4, v3, vcc
	v_mov_b32_e32 v2, v1
	v_mov_b32_e32 v3, v1
	;; [unrolled: 1-line block ×4, first 2 shown]
	global_store_dwordx4 v[8:9], v[2:5], off
.LBB58_5:
	s_andn2_saveexec_b64 s[6:7], s[6:7]
	s_cbranch_execz .LBB58_17
; %bb.6:
	v_lshlrev_b64 v[2:3], 4, v[6:7]
	v_mov_b32_e32 v1, s17
	v_add_co_u32_e32 v2, vcc, s16, v2
	v_addc_co_u32_e32 v3, vcc, v1, v3, vcc
	global_load_dwordx4 v[2:5], v[2:3], off
	s_cmpk_lg_i32 s5, 0xb5
	s_mov_b64 s[8:9], -1
	s_cbranch_scc0 .LBB58_12
; %bb.7:
	v_mov_b32_e32 v1, 0
	s_andn2_b64 vcc, exec, s[0:1]
	v_lshlrev_b64 v[8:9], 4, v[0:1]
	s_cbranch_vccnz .LBB58_9
; %bb.8:
	s_sub_i32 s4, s20, s21
	v_add_u32_e32 v1, s4, v6
	v_mad_u64_u32 v[10:11], s[8:9], v1, s3, 0
	s_ashr_i32 s4, s3, 31
	v_mov_b32_e32 v12, v11
	v_mad_u64_u32 v[12:13], s[8:9], v1, s4, v[12:13]
	v_mov_b32_e32 v11, v12
	v_lshlrev_b64 v[10:11], 4, v[10:11]
	v_mov_b32_e32 v1, s12
	v_add_co_u32_e32 v10, vcc, s2, v10
	v_addc_co_u32_e32 v1, vcc, v1, v11, vcc
	v_add_co_u32_e32 v10, vcc, v10, v8
	v_addc_co_u32_e32 v11, vcc, v1, v9, vcc
	global_load_dwordx4 v[10:13], v[10:11], off
	v_mad_u64_u32 v[14:15], s[8:9], v6, s22, 0
	s_ashr_i32 s4, s22, 31
	v_mov_b32_e32 v16, v15
	v_mad_u64_u32 v[16:17], s[8:9], v6, s4, v[16:17]
	v_mov_b32_e32 v15, v16
	v_lshlrev_b64 v[14:15], 4, v[14:15]
	v_mov_b32_e32 v1, s15
	v_add_co_u32_e32 v14, vcc, s14, v14
	v_addc_co_u32_e32 v1, vcc, v1, v15, vcc
	v_add_co_u32_e32 v16, vcc, v14, v8
	v_addc_co_u32_e32 v17, vcc, v1, v9, vcc
	s_mov_b64 s[8:9], 0
	s_waitcnt vmcnt(0)
	v_mul_f64 v[14:15], v[2:3], v[10:11]
	v_mul_f64 v[18:19], v[2:3], v[12:13]
	v_fma_f64 v[12:13], v[4:5], v[12:13], -v[14:15]
	v_fma_f64 v[14:15], v[10:11], -v[4:5], -v[18:19]
	global_store_dwordx4 v[16:17], v[12:15], off
.LBB58_9:
	s_andn2_b64 vcc, exec, s[8:9]
	s_cbranch_vccnz .LBB58_11
; %bb.10:
	v_mad_u64_u32 v[10:11], s[8:9], v6, s22, 0
	s_ashr_i32 s4, s22, 31
	v_mov_b32_e32 v12, v11
	v_mad_u64_u32 v[12:13], s[8:9], v6, s4, v[12:13]
	v_mov_b32_e32 v11, v12
	v_lshlrev_b64 v[10:11], 4, v[10:11]
	v_mov_b32_e32 v1, s15
	v_add_co_u32_e32 v10, vcc, s14, v10
	v_addc_co_u32_e32 v1, vcc, v1, v11, vcc
	v_add_co_u32_e32 v16, vcc, v10, v8
	s_sub_i32 s4, s20, s21
	v_addc_co_u32_e32 v17, vcc, v1, v9, vcc
	v_add_u32_e32 v1, s4, v6
	v_mad_u64_u32 v[10:11], s[8:9], v1, s3, 0
	s_ashr_i32 s4, s3, 31
	v_mov_b32_e32 v12, v11
	v_mad_u64_u32 v[12:13], s[8:9], v1, s4, v[12:13]
	v_mov_b32_e32 v11, v12
	v_lshlrev_b64 v[10:11], 4, v[10:11]
	v_mov_b32_e32 v1, s12
	v_add_co_u32_e32 v10, vcc, s2, v10
	v_addc_co_u32_e32 v1, vcc, v1, v11, vcc
	v_add_co_u32_e32 v18, vcc, v10, v8
	v_addc_co_u32_e32 v19, vcc, v1, v9, vcc
	global_load_dwordx4 v[8:11], v[16:17], off
	global_load_dwordx4 v[12:15], v[18:19], off
	s_waitcnt vmcnt(0)
	v_add_f64 v[12:13], v[12:13], v[8:9]
	v_add_f64 v[8:9], v[14:15], v[10:11]
	v_mul_f64 v[10:11], v[2:3], v[12:13]
	v_mul_f64 v[14:15], v[2:3], v[8:9]
	v_fma_f64 v[8:9], v[4:5], v[8:9], -v[10:11]
	v_fma_f64 v[10:11], v[12:13], -v[4:5], -v[14:15]
	global_store_dwordx4 v[16:17], v[8:11], off
.LBB58_11:
	s_mov_b64 s[8:9], 0
.LBB58_12:
	s_andn2_b64 vcc, exec, s[8:9]
	s_cbranch_vccnz .LBB58_17
; %bb.13:
	s_andn2_b64 vcc, exec, s[0:1]
	s_mov_b64 s[8:9], -1
	s_cbranch_vccnz .LBB58_15
; %bb.14:
	s_sub_i32 s4, s20, s21
	v_mad_u64_u32 v[8:9], s[8:9], v0, s3, 0
	v_add_u32_e32 v12, s4, v6
	s_ashr_i32 s4, s3, 31
	v_mov_b32_e32 v10, v9
	v_mad_u64_u32 v[10:11], s[8:9], v0, s4, v[10:11]
	v_mov_b32_e32 v9, v10
	v_lshlrev_b64 v[8:9], 4, v[8:9]
	v_mov_b32_e32 v13, 0
	v_mov_b32_e32 v1, s12
	v_add_co_u32_e32 v10, vcc, s2, v8
	v_addc_co_u32_e32 v1, vcc, v1, v9, vcc
	v_lshlrev_b64 v[8:9], 4, v[12:13]
	v_add_co_u32_e32 v8, vcc, v10, v8
	v_addc_co_u32_e32 v9, vcc, v1, v9, vcc
	global_load_dwordx4 v[8:11], v[8:9], off
	v_mad_u64_u32 v[14:15], s[8:9], v6, s22, 0
	s_ashr_i32 s4, s22, 31
	v_mov_b32_e32 v12, v15
	v_mov_b32_e32 v1, v13
	v_mad_u64_u32 v[12:13], s[8:9], v6, s4, v[12:13]
	v_mov_b32_e32 v15, v12
	v_lshlrev_b64 v[12:13], 4, v[14:15]
	v_mov_b32_e32 v18, s15
	v_lshlrev_b64 v[16:17], 4, v[0:1]
	v_add_co_u32_e32 v1, vcc, s14, v12
	v_addc_co_u32_e32 v13, vcc, v18, v13, vcc
	v_add_co_u32_e32 v12, vcc, v1, v16
	v_addc_co_u32_e32 v13, vcc, v13, v17, vcc
	s_mov_b64 s[8:9], 0
	s_waitcnt vmcnt(0)
	v_mul_f64 v[14:15], v[4:5], v[10:11]
	v_mul_f64 v[16:17], v[4:5], v[8:9]
	v_fma_f64 v[8:9], v[8:9], -v[2:3], -v[14:15]
	v_fma_f64 v[10:11], v[2:3], v[10:11], -v[16:17]
	global_store_dwordx4 v[12:13], v[8:11], off
.LBB58_15:
	s_andn2_b64 vcc, exec, s[8:9]
	s_cbranch_vccnz .LBB58_17
; %bb.16:
	v_mad_u64_u32 v[8:9], s[8:9], v6, s22, 0
	s_ashr_i32 s4, s22, 31
	v_mov_b32_e32 v10, v9
	v_mad_u64_u32 v[10:11], s[8:9], v6, s4, v[10:11]
	v_mov_b32_e32 v9, v10
	v_lshlrev_b64 v[8:9], 4, v[8:9]
	v_mov_b32_e32 v1, 0
	v_mov_b32_e32 v10, s15
	v_add_co_u32_e32 v11, vcc, s14, v8
	v_addc_co_u32_e32 v10, vcc, v10, v9, vcc
	v_lshlrev_b64 v[8:9], 4, v[0:1]
	v_add_co_u32_e32 v16, vcc, v11, v8
	v_addc_co_u32_e32 v17, vcc, v10, v9, vcc
	s_sub_i32 s4, s20, s21
	v_mad_u64_u32 v[10:11], s[8:9], v0, s3, 0
	v_add_u32_e32 v8, s4, v6
	s_ashr_i32 s4, s3, 31
	v_mov_b32_e32 v12, v11
	v_mad_u64_u32 v[12:13], s[8:9], v0, s4, v[12:13]
	v_mov_b32_e32 v11, v12
	v_lshlrev_b64 v[10:11], 4, v[10:11]
	v_mov_b32_e32 v9, v1
	v_mov_b32_e32 v1, s12
	v_add_co_u32_e32 v10, vcc, s2, v10
	v_addc_co_u32_e32 v1, vcc, v1, v11, vcc
	v_lshlrev_b64 v[8:9], 4, v[8:9]
	v_add_co_u32_e32 v18, vcc, v10, v8
	v_addc_co_u32_e32 v19, vcc, v1, v9, vcc
	global_load_dwordx4 v[8:11], v[18:19], off
	global_load_dwordx4 v[12:15], v[16:17], off
	s_waitcnt vmcnt(0)
	v_add_f64 v[8:9], v[8:9], v[12:13]
	v_add_f64 v[10:11], v[14:15], -v[10:11]
	v_mul_f64 v[12:13], v[2:3], v[8:9]
	v_mul_f64 v[14:15], v[2:3], v[10:11]
	v_fma_f64 v[2:3], v[4:5], v[10:11], -v[12:13]
	v_fma_f64 v[4:5], v[8:9], -v[4:5], -v[14:15]
	global_store_dwordx4 v[16:17], v[2:5], off
.LBB58_17:
	s_or_b64 exec, exec, s[6:7]
	s_mov_b64 s[6:7], 0
.LBB58_18:
	s_andn2_b64 vcc, exec, s[6:7]
	s_cbranch_vccnz .LBB58_34
; %bb.19:
	v_cmp_ge_u32_e32 vcc, v0, v6
	s_and_saveexec_b64 s[6:7], vcc
	s_xor_b64 s[6:7], exec, s[6:7]
	s_cbranch_execz .LBB58_21
; %bb.20:
	s_waitcnt vmcnt(0)
	v_mad_u64_u32 v[2:3], s[8:9], v6, s22, 0
	s_ashr_i32 s4, s22, 31
	v_mov_b32_e32 v4, v3
	v_mad_u64_u32 v[4:5], s[8:9], v6, s4, v[4:5]
	v_mov_b32_e32 v3, v4
	v_lshlrev_b64 v[2:3], 4, v[2:3]
	v_mov_b32_e32 v1, 0
	v_mov_b32_e32 v4, s15
	v_add_co_u32_e32 v5, vcc, s14, v2
	v_addc_co_u32_e32 v6, vcc, v4, v3, vcc
	v_lshlrev_b64 v[2:3], 4, v[0:1]
	v_add_co_u32_e32 v4, vcc, v5, v2
	v_addc_co_u32_e32 v5, vcc, v6, v3, vcc
	v_mov_b32_e32 v0, v1
	v_mov_b32_e32 v2, v1
	;; [unrolled: 1-line block ×3, first 2 shown]
	global_store_dwordx4 v[4:5], v[0:3], off
                                        ; implicit-def: $vgpr6_vgpr7
                                        ; implicit-def: $vgpr0
.LBB58_21:
	s_andn2_saveexec_b64 s[6:7], s[6:7]
	s_cbranch_execz .LBB58_33
; %bb.22:
	v_lshlrev_b64 v[8:9], 4, v[6:7]
	v_mov_b32_e32 v1, s17
	s_waitcnt vmcnt(0)
	v_add_co_u32_e32 v2, vcc, s16, v8
	v_addc_co_u32_e32 v3, vcc, v1, v9, vcc
	global_load_dwordx4 v[2:5], v[2:3], off
	v_cndmask_b32_e64 v1, 0, 1, s[0:1]
	s_cmpk_lg_i32 s5, 0xb5
	s_mov_b64 s[4:5], -1
	v_cmp_ne_u32_e64 s[0:1], 1, v1
	s_cbranch_scc0 .LBB58_28
; %bb.23:
	v_mov_b32_e32 v1, 0
	s_and_b64 vcc, exec, s[0:1]
	v_lshlrev_b64 v[10:11], 4, v[0:1]
	s_cbranch_vccnz .LBB58_25
; %bb.24:
	v_mad_u64_u32 v[12:13], s[4:5], v6, s3, 0
	s_ashr_i32 s8, s3, 31
	v_mov_b32_e32 v14, v13
	v_mad_u64_u32 v[14:15], s[4:5], v6, s8, v[14:15]
	v_mov_b32_e32 v13, v14
	v_lshlrev_b64 v[12:13], 4, v[12:13]
	v_mov_b32_e32 v1, s12
	v_add_co_u32_e32 v7, vcc, s2, v12
	v_addc_co_u32_e32 v1, vcc, v1, v13, vcc
	v_add_co_u32_e32 v12, vcc, v7, v10
	v_addc_co_u32_e32 v13, vcc, v1, v11, vcc
	global_load_dwordx4 v[12:15], v[12:13], off
	v_mad_u64_u32 v[16:17], s[4:5], v6, s22, 0
	s_ashr_i32 s8, s22, 31
	v_mov_b32_e32 v18, v17
	v_mad_u64_u32 v[18:19], s[4:5], v6, s8, v[18:19]
	v_mov_b32_e32 v17, v18
	v_lshlrev_b64 v[16:17], 4, v[16:17]
	v_mov_b32_e32 v1, s15
	v_add_co_u32_e32 v7, vcc, s14, v16
	v_addc_co_u32_e32 v1, vcc, v1, v17, vcc
	v_add_co_u32_e32 v18, vcc, v7, v10
	v_addc_co_u32_e32 v19, vcc, v1, v11, vcc
	s_mov_b64 s[4:5], 0
	s_waitcnt vmcnt(0)
	v_mul_f64 v[16:17], v[2:3], v[12:13]
	v_mul_f64 v[20:21], v[2:3], v[14:15]
	v_fma_f64 v[14:15], v[4:5], v[14:15], -v[16:17]
	v_fma_f64 v[16:17], v[12:13], -v[4:5], -v[20:21]
	global_store_dwordx4 v[18:19], v[14:17], off
.LBB58_25:
	s_andn2_b64 vcc, exec, s[4:5]
	s_cbranch_vccnz .LBB58_27
; %bb.26:
	v_mad_u64_u32 v[12:13], s[4:5], v6, s22, 0
	s_ashr_i32 s8, s22, 31
	v_mov_b32_e32 v14, v13
	v_mad_u64_u32 v[14:15], s[4:5], v6, s8, v[14:15]
	v_mov_b32_e32 v13, v14
	v_lshlrev_b64 v[12:13], 4, v[12:13]
	v_mov_b32_e32 v1, s15
	v_add_co_u32_e32 v7, vcc, s14, v12
	v_addc_co_u32_e32 v1, vcc, v1, v13, vcc
	v_mad_u64_u32 v[12:13], s[4:5], v6, s3, 0
	s_ashr_i32 s8, s3, 31
	v_mov_b32_e32 v14, v13
	v_mad_u64_u32 v[14:15], s[4:5], v6, s8, v[14:15]
	v_add_co_u32_e32 v18, vcc, v7, v10
	v_mov_b32_e32 v13, v14
	v_addc_co_u32_e32 v19, vcc, v1, v11, vcc
	v_lshlrev_b64 v[12:13], 4, v[12:13]
	v_mov_b32_e32 v1, s12
	v_add_co_u32_e32 v7, vcc, s2, v12
	v_addc_co_u32_e32 v1, vcc, v1, v13, vcc
	v_add_co_u32_e32 v20, vcc, v7, v10
	v_addc_co_u32_e32 v21, vcc, v1, v11, vcc
	global_load_dwordx4 v[10:13], v[20:21], off
	global_load_dwordx4 v[14:17], v[18:19], off
	s_waitcnt vmcnt(0)
	v_add_f64 v[14:15], v[10:11], v[14:15]
	v_add_f64 v[10:11], v[12:13], v[16:17]
	v_mul_f64 v[12:13], v[2:3], v[14:15]
	v_mul_f64 v[16:17], v[2:3], v[10:11]
	v_fma_f64 v[10:11], v[4:5], v[10:11], -v[12:13]
	v_fma_f64 v[12:13], v[14:15], -v[4:5], -v[16:17]
	global_store_dwordx4 v[18:19], v[10:13], off
.LBB58_27:
	s_mov_b64 s[4:5], 0
.LBB58_28:
	s_andn2_b64 vcc, exec, s[4:5]
	s_cbranch_vccnz .LBB58_33
; %bb.29:
	v_mov_b32_e32 v1, 0
	s_mov_b64 s[4:5], -1
	s_and_b64 vcc, exec, s[0:1]
	v_lshlrev_b64 v[10:11], 4, v[0:1]
	s_cbranch_vccnz .LBB58_31
; %bb.30:
	v_mad_u64_u32 v[12:13], s[0:1], v0, s3, 0
	s_ashr_i32 s4, s3, 31
	v_mov_b32_e32 v14, v13
	v_mad_u64_u32 v[14:15], s[0:1], v0, s4, v[14:15]
	v_mov_b32_e32 v13, v14
	v_lshlrev_b64 v[12:13], 4, v[12:13]
	v_mov_b32_e32 v1, s12
	v_add_co_u32_e32 v7, vcc, s2, v12
	v_addc_co_u32_e32 v1, vcc, v1, v13, vcc
	v_add_co_u32_e32 v12, vcc, v7, v8
	v_addc_co_u32_e32 v13, vcc, v1, v9, vcc
	global_load_dwordx4 v[12:15], v[12:13], off
	v_mad_u64_u32 v[16:17], s[0:1], v6, s22, 0
	s_ashr_i32 s4, s22, 31
	v_mov_b32_e32 v18, v17
	v_mad_u64_u32 v[18:19], s[0:1], v6, s4, v[18:19]
	v_mov_b32_e32 v17, v18
	v_lshlrev_b64 v[16:17], 4, v[16:17]
	v_mov_b32_e32 v1, s15
	v_add_co_u32_e32 v7, vcc, s14, v16
	v_addc_co_u32_e32 v1, vcc, v1, v17, vcc
	v_add_co_u32_e32 v16, vcc, v7, v10
	v_addc_co_u32_e32 v17, vcc, v1, v11, vcc
	s_mov_b64 s[4:5], 0
	s_waitcnt vmcnt(0)
	v_mul_f64 v[18:19], v[4:5], v[14:15]
	v_mul_f64 v[20:21], v[4:5], v[12:13]
	v_fma_f64 v[12:13], v[12:13], -v[2:3], -v[18:19]
	v_fma_f64 v[14:15], v[2:3], v[14:15], -v[20:21]
	global_store_dwordx4 v[16:17], v[12:15], off
.LBB58_31:
	s_andn2_b64 vcc, exec, s[4:5]
	s_cbranch_vccnz .LBB58_33
; %bb.32:
	v_mad_u64_u32 v[12:13], s[0:1], v6, s22, 0
	s_ashr_i32 s4, s22, 31
	v_mov_b32_e32 v14, v13
	v_mad_u64_u32 v[6:7], s[0:1], v6, s4, v[14:15]
	v_mov_b32_e32 v13, v6
	v_lshlrev_b64 v[6:7], 4, v[12:13]
	v_mov_b32_e32 v1, s15
	v_add_co_u32_e32 v6, vcc, s14, v6
	v_addc_co_u32_e32 v1, vcc, v1, v7, vcc
	v_add_co_u32_e32 v14, vcc, v6, v10
	v_mad_u64_u32 v[6:7], s[0:1], v0, s3, 0
	s_ashr_i32 s4, s3, 31
	v_mov_b32_e32 v10, v7
	v_addc_co_u32_e32 v15, vcc, v1, v11, vcc
	v_mad_u64_u32 v[0:1], s[0:1], v0, s4, v[10:11]
	v_mov_b32_e32 v7, v0
	v_lshlrev_b64 v[0:1], 4, v[6:7]
	v_mov_b32_e32 v6, s12
	v_add_co_u32_e32 v0, vcc, s2, v0
	v_addc_co_u32_e32 v1, vcc, v6, v1, vcc
	v_add_co_u32_e32 v0, vcc, v0, v8
	v_addc_co_u32_e32 v1, vcc, v1, v9, vcc
	global_load_dwordx4 v[6:9], v[0:1], off
	global_load_dwordx4 v[10:13], v[14:15], off
	s_waitcnt vmcnt(0)
	v_add_f64 v[6:7], v[6:7], v[10:11]
	v_add_f64 v[0:1], v[12:13], -v[8:9]
	v_mul_f64 v[8:9], v[2:3], v[6:7]
	v_mul_f64 v[2:3], v[2:3], v[0:1]
	v_fma_f64 v[0:1], v[4:5], v[0:1], -v[8:9]
	v_fma_f64 v[2:3], v[6:7], -v[4:5], -v[2:3]
	global_store_dwordx4 v[14:15], v[0:3], off
.LBB58_33:
	s_or_b64 exec, exec, s[6:7]
                                        ; implicit-def: $vgpr6
.LBB58_34:
	s_andn2_saveexec_b64 s[0:1], s[10:11]
	s_cbranch_execz .LBB58_36
; %bb.35:
	v_mov_b32_e32 v7, 0
	s_waitcnt vmcnt(0)
	v_lshlrev_b64 v[4:5], 4, v[6:7]
	v_mov_b32_e32 v1, s17
	v_add_co_u32_e32 v0, vcc, s16, v4
	v_addc_co_u32_e32 v1, vcc, v1, v5, vcc
	global_load_dwordx4 v[0:3], v[0:1], off
	v_mad_u64_u32 v[8:9], s[0:1], v6, s22, 0
	s_ashr_i32 s2, s22, 31
	v_mov_b32_e32 v10, v9
	v_mad_u64_u32 v[6:7], s[0:1], v6, s2, v[10:11]
	v_mov_b32_e32 v9, v6
	v_lshlrev_b64 v[6:7], 4, v[8:9]
	v_mov_b32_e32 v8, s15
	v_add_co_u32_e32 v6, vcc, s14, v6
	v_addc_co_u32_e32 v7, vcc, v8, v7, vcc
	v_add_co_u32_e32 v4, vcc, v6, v4
	v_addc_co_u32_e32 v5, vcc, v7, v5, vcc
	s_waitcnt vmcnt(0)
	global_store_dwordx4 v[4:5], v[0:3], off
.LBB58_36:
	s_endpgm
	.section	.rodata,"a",@progbits
	.p2align	6, 0x0
	.amdhsa_kernel _ZN9rocsolver6v33100L14set_triangularI19rocblas_complex_numIdEPS3_TnNSt9enable_ifIX18rocblas_is_complexIT_EEiE4typeELi0EEEviiT0_iilPS6_lSA_il15rocblas_direct_15rocblas_storev_b
		.amdhsa_group_segment_fixed_size 0
		.amdhsa_private_segment_fixed_size 0
		.amdhsa_kernarg_size 344
		.amdhsa_user_sgpr_count 6
		.amdhsa_user_sgpr_private_segment_buffer 1
		.amdhsa_user_sgpr_dispatch_ptr 0
		.amdhsa_user_sgpr_queue_ptr 0
		.amdhsa_user_sgpr_kernarg_segment_ptr 1
		.amdhsa_user_sgpr_dispatch_id 0
		.amdhsa_user_sgpr_flat_scratch_init 0
		.amdhsa_user_sgpr_kernarg_preload_length 0
		.amdhsa_user_sgpr_kernarg_preload_offset 0
		.amdhsa_user_sgpr_private_segment_size 0
		.amdhsa_uses_dynamic_stack 0
		.amdhsa_system_sgpr_private_segment_wavefront_offset 0
		.amdhsa_system_sgpr_workgroup_id_x 1
		.amdhsa_system_sgpr_workgroup_id_y 1
		.amdhsa_system_sgpr_workgroup_id_z 1
		.amdhsa_system_sgpr_workgroup_info 0
		.amdhsa_system_vgpr_workitem_id 1
		.amdhsa_next_free_vgpr 22
		.amdhsa_next_free_sgpr 23
		.amdhsa_accum_offset 24
		.amdhsa_reserve_vcc 1
		.amdhsa_reserve_flat_scratch 0
		.amdhsa_float_round_mode_32 0
		.amdhsa_float_round_mode_16_64 0
		.amdhsa_float_denorm_mode_32 3
		.amdhsa_float_denorm_mode_16_64 3
		.amdhsa_dx10_clamp 1
		.amdhsa_ieee_mode 1
		.amdhsa_fp16_overflow 0
		.amdhsa_tg_split 0
		.amdhsa_exception_fp_ieee_invalid_op 0
		.amdhsa_exception_fp_denorm_src 0
		.amdhsa_exception_fp_ieee_div_zero 0
		.amdhsa_exception_fp_ieee_overflow 0
		.amdhsa_exception_fp_ieee_underflow 0
		.amdhsa_exception_fp_ieee_inexact 0
		.amdhsa_exception_int_div_zero 0
	.end_amdhsa_kernel
	.section	.text._ZN9rocsolver6v33100L14set_triangularI19rocblas_complex_numIdEPS3_TnNSt9enable_ifIX18rocblas_is_complexIT_EEiE4typeELi0EEEviiT0_iilPS6_lSA_il15rocblas_direct_15rocblas_storev_b,"axG",@progbits,_ZN9rocsolver6v33100L14set_triangularI19rocblas_complex_numIdEPS3_TnNSt9enable_ifIX18rocblas_is_complexIT_EEiE4typeELi0EEEviiT0_iilPS6_lSA_il15rocblas_direct_15rocblas_storev_b,comdat
.Lfunc_end58:
	.size	_ZN9rocsolver6v33100L14set_triangularI19rocblas_complex_numIdEPS3_TnNSt9enable_ifIX18rocblas_is_complexIT_EEiE4typeELi0EEEviiT0_iilPS6_lSA_il15rocblas_direct_15rocblas_storev_b, .Lfunc_end58-_ZN9rocsolver6v33100L14set_triangularI19rocblas_complex_numIdEPS3_TnNSt9enable_ifIX18rocblas_is_complexIT_EEiE4typeELi0EEEviiT0_iilPS6_lSA_il15rocblas_direct_15rocblas_storev_b
                                        ; -- End function
	.section	.AMDGPU.csdata,"",@progbits
; Kernel info:
; codeLenInByte = 2380
; NumSgprs: 27
; NumVgprs: 22
; NumAgprs: 0
; TotalNumVgprs: 22
; ScratchSize: 0
; MemoryBound: 1
; FloatMode: 240
; IeeeMode: 1
; LDSByteSize: 0 bytes/workgroup (compile time only)
; SGPRBlocks: 3
; VGPRBlocks: 2
; NumSGPRsForWavesPerEU: 27
; NumVGPRsForWavesPerEU: 22
; AccumOffset: 24
; Occupancy: 8
; WaveLimiterHint : 0
; COMPUTE_PGM_RSRC2:SCRATCH_EN: 0
; COMPUTE_PGM_RSRC2:USER_SGPR: 6
; COMPUTE_PGM_RSRC2:TRAP_HANDLER: 0
; COMPUTE_PGM_RSRC2:TGID_X_EN: 1
; COMPUTE_PGM_RSRC2:TGID_Y_EN: 1
; COMPUTE_PGM_RSRC2:TGID_Z_EN: 1
; COMPUTE_PGM_RSRC2:TIDIG_COMP_CNT: 1
; COMPUTE_PGM_RSRC3_GFX90A:ACCUM_OFFSET: 5
; COMPUTE_PGM_RSRC3_GFX90A:TG_SPLIT: 0
	.section	.text._ZN9rocsolver6v33100L7set_tauI19rocblas_complex_numIdEEEviPT_l,"axG",@progbits,_ZN9rocsolver6v33100L7set_tauI19rocblas_complex_numIdEEEviPT_l,comdat
	.globl	_ZN9rocsolver6v33100L7set_tauI19rocblas_complex_numIdEEEviPT_l ; -- Begin function _ZN9rocsolver6v33100L7set_tauI19rocblas_complex_numIdEEEviPT_l
	.p2align	8
	.type	_ZN9rocsolver6v33100L7set_tauI19rocblas_complex_numIdEEEviPT_l,@function
_ZN9rocsolver6v33100L7set_tauI19rocblas_complex_numIdEEEviPT_l: ; @_ZN9rocsolver6v33100L7set_tauI19rocblas_complex_numIdEEEviPT_l
; %bb.0:
	s_load_dword s0, s[4:5], 0x24
	s_load_dword s1, s[4:5], 0x0
	s_waitcnt lgkmcnt(0)
	s_and_b32 s0, s0, 0xffff
	s_mul_i32 s6, s6, s0
	v_add_u32_e32 v0, s6, v0
	v_cmp_gt_u32_e32 vcc, s1, v0
	s_and_saveexec_b64 s[0:1], vcc
	s_cbranch_execz .LBB59_2
; %bb.1:
	s_load_dwordx4 s[0:3], s[4:5], 0x8
	v_mov_b32_e32 v1, 0
	v_lshlrev_b64 v[0:1], 4, v[0:1]
	s_waitcnt lgkmcnt(0)
	s_mul_i32 s3, s7, s3
	s_mul_hi_u32 s4, s7, s2
	s_mul_i32 s2, s7, s2
	s_add_i32 s3, s4, s3
	s_lshl_b64 s[2:3], s[2:3], 4
	s_add_u32 s0, s0, s2
	s_addc_u32 s1, s1, s3
	v_mov_b32_e32 v2, s1
	v_add_co_u32_e32 v4, vcc, s0, v0
	v_addc_co_u32_e32 v5, vcc, v2, v1, vcc
	global_load_dwordx4 v[0:3], v[4:5], off
	s_waitcnt vmcnt(0)
	v_xor_b32_e32 v1, 0x80000000, v1
	v_xor_b32_e32 v3, 0x80000000, v3
	global_store_dwordx4 v[4:5], v[0:3], off
.LBB59_2:
	s_endpgm
	.section	.rodata,"a",@progbits
	.p2align	6, 0x0
	.amdhsa_kernel _ZN9rocsolver6v33100L7set_tauI19rocblas_complex_numIdEEEviPT_l
		.amdhsa_group_segment_fixed_size 0
		.amdhsa_private_segment_fixed_size 0
		.amdhsa_kernarg_size 280
		.amdhsa_user_sgpr_count 6
		.amdhsa_user_sgpr_private_segment_buffer 1
		.amdhsa_user_sgpr_dispatch_ptr 0
		.amdhsa_user_sgpr_queue_ptr 0
		.amdhsa_user_sgpr_kernarg_segment_ptr 1
		.amdhsa_user_sgpr_dispatch_id 0
		.amdhsa_user_sgpr_flat_scratch_init 0
		.amdhsa_user_sgpr_kernarg_preload_length 0
		.amdhsa_user_sgpr_kernarg_preload_offset 0
		.amdhsa_user_sgpr_private_segment_size 0
		.amdhsa_uses_dynamic_stack 0
		.amdhsa_system_sgpr_private_segment_wavefront_offset 0
		.amdhsa_system_sgpr_workgroup_id_x 1
		.amdhsa_system_sgpr_workgroup_id_y 1
		.amdhsa_system_sgpr_workgroup_id_z 0
		.amdhsa_system_sgpr_workgroup_info 0
		.amdhsa_system_vgpr_workitem_id 0
		.amdhsa_next_free_vgpr 6
		.amdhsa_next_free_sgpr 8
		.amdhsa_accum_offset 8
		.amdhsa_reserve_vcc 1
		.amdhsa_reserve_flat_scratch 0
		.amdhsa_float_round_mode_32 0
		.amdhsa_float_round_mode_16_64 0
		.amdhsa_float_denorm_mode_32 3
		.amdhsa_float_denorm_mode_16_64 3
		.amdhsa_dx10_clamp 1
		.amdhsa_ieee_mode 1
		.amdhsa_fp16_overflow 0
		.amdhsa_tg_split 0
		.amdhsa_exception_fp_ieee_invalid_op 0
		.amdhsa_exception_fp_denorm_src 0
		.amdhsa_exception_fp_ieee_div_zero 0
		.amdhsa_exception_fp_ieee_overflow 0
		.amdhsa_exception_fp_ieee_underflow 0
		.amdhsa_exception_fp_ieee_inexact 0
		.amdhsa_exception_int_div_zero 0
	.end_amdhsa_kernel
	.section	.text._ZN9rocsolver6v33100L7set_tauI19rocblas_complex_numIdEEEviPT_l,"axG",@progbits,_ZN9rocsolver6v33100L7set_tauI19rocblas_complex_numIdEEEviPT_l,comdat
.Lfunc_end59:
	.size	_ZN9rocsolver6v33100L7set_tauI19rocblas_complex_numIdEEEviPT_l, .Lfunc_end59-_ZN9rocsolver6v33100L7set_tauI19rocblas_complex_numIdEEEviPT_l
                                        ; -- End function
	.section	.AMDGPU.csdata,"",@progbits
; Kernel info:
; codeLenInByte = 152
; NumSgprs: 12
; NumVgprs: 6
; NumAgprs: 0
; TotalNumVgprs: 6
; ScratchSize: 0
; MemoryBound: 0
; FloatMode: 240
; IeeeMode: 1
; LDSByteSize: 0 bytes/workgroup (compile time only)
; SGPRBlocks: 1
; VGPRBlocks: 0
; NumSGPRsForWavesPerEU: 12
; NumVGPRsForWavesPerEU: 6
; AccumOffset: 8
; Occupancy: 8
; WaveLimiterHint : 0
; COMPUTE_PGM_RSRC2:SCRATCH_EN: 0
; COMPUTE_PGM_RSRC2:USER_SGPR: 6
; COMPUTE_PGM_RSRC2:TRAP_HANDLER: 0
; COMPUTE_PGM_RSRC2:TGID_X_EN: 1
; COMPUTE_PGM_RSRC2:TGID_Y_EN: 1
; COMPUTE_PGM_RSRC2:TGID_Z_EN: 0
; COMPUTE_PGM_RSRC2:TIDIG_COMP_CNT: 0
; COMPUTE_PGM_RSRC3_GFX90A:ACCUM_OFFSET: 1
; COMPUTE_PGM_RSRC3_GFX90A:TG_SPLIT: 0
	.section	.text._ZN9rocsolver6v33100L20larft_kernel_forwardI19rocblas_complex_numIdEPS3_EEv15rocblas_storev_iiT0_iilPT_lS8_il,"axG",@progbits,_ZN9rocsolver6v33100L20larft_kernel_forwardI19rocblas_complex_numIdEPS3_EEv15rocblas_storev_iiT0_iilPT_lS8_il,comdat
	.globl	_ZN9rocsolver6v33100L20larft_kernel_forwardI19rocblas_complex_numIdEPS3_EEv15rocblas_storev_iiT0_iilPT_lS8_il ; -- Begin function _ZN9rocsolver6v33100L20larft_kernel_forwardI19rocblas_complex_numIdEPS3_EEv15rocblas_storev_iiT0_iilPT_lS8_il
	.p2align	8
	.type	_ZN9rocsolver6v33100L20larft_kernel_forwardI19rocblas_complex_numIdEPS3_EEv15rocblas_storev_iiT0_iilPT_lS8_il,@function
_ZN9rocsolver6v33100L20larft_kernel_forwardI19rocblas_complex_numIdEPS3_EEv15rocblas_storev_iiT0_iilPT_lS8_il: ; @_ZN9rocsolver6v33100L20larft_kernel_forwardI19rocblas_complex_numIdEPS3_EEv15rocblas_storev_iiT0_iilPT_lS8_il
; %bb.0:
	s_load_dword s2, s[4:5], 0x5c
	s_load_dword s33, s[4:5], 0x40
	s_load_dwordx2 s[0:1], s[4:5], 0x48
	s_load_dwordx4 s[16:19], s[4:5], 0x0
	s_load_dwordx8 s[8:15], s[4:5], 0x20
	s_waitcnt lgkmcnt(0)
	s_and_b32 s19, s2, 0xffff
	s_ashr_i32 s6, s7, 31
	s_mul_i32 s1, s7, s1
	s_mul_hi_u32 s2, s7, s0
	s_add_i32 s1, s2, s1
	s_mul_i32 s2, s6, s0
	s_add_i32 s1, s1, s2
	s_mul_i32 s0, s7, s0
	s_lshl_b64 s[0:1], s[0:1], 4
	s_add_u32 s38, s14, s0
	s_addc_u32 s39, s15, s1
	v_cmp_gt_i32_e64 s[0:1], s18, v0
	v_lshlrev_b32_e32 v1, 4, v0
	s_and_saveexec_b64 s[2:3], s[0:1]
	s_cbranch_execz .LBB60_5
; %bb.1:
	v_add_u32_e32 v2, 16, v1
	v_mul_lo_u32 v2, s18, v2
	s_lshl_b32 s22, s18, 4
	v_add3_u32 v6, v2, v1, 0
	s_add_i32 s23, s22, 16
	s_add_i32 s24, s33, 1
	v_mad_u64_u32 v[2:3], s[14:15], v0, s33, v[0:1]
	s_mul_i32 s23, s23, s19
	s_mul_i32 s24, s24, s19
	s_mov_b64 s[14:15], 0
	v_mov_b32_e32 v3, s39
	v_mov_b32_e32 v7, v0
.LBB60_2:                               ; =>This Loop Header: Depth=1
                                        ;     Child Loop BB60_3 Depth 2
	s_mov_b64 s[20:21], 0
	v_mov_b32_e32 v4, v2
	v_mov_b32_e32 v8, v6
	;; [unrolled: 1-line block ×3, first 2 shown]
.LBB60_3:                               ;   Parent Loop BB60_2 Depth=1
                                        ; =>  This Inner Loop Header: Depth=2
	v_ashrrev_i32_e32 v5, 31, v4
	v_lshlrev_b64 v[10:11], 4, v[4:5]
	v_add_co_u32_e32 v10, vcc, s38, v10
	v_addc_co_u32_e32 v11, vcc, v3, v11, vcc
	global_load_dwordx4 v[10:13], v[10:11], off
	v_add_u32_e32 v9, 1, v9
	v_cmp_le_i32_e32 vcc, s18, v9
	v_add_u32_e32 v4, s33, v4
	s_or_b64 s[20:21], vcc, s[20:21]
	s_waitcnt vmcnt(0)
	ds_write2_b64 v8, v[10:11], v[12:13] offset1:1
	v_add_u32_e32 v8, s22, v8
	s_andn2_b64 exec, exec, s[20:21]
	s_cbranch_execnz .LBB60_3
; %bb.4:                                ;   in Loop: Header=BB60_2 Depth=1
	s_or_b64 exec, exec, s[20:21]
	v_add_u32_e32 v7, s19, v7
	v_cmp_le_i32_e32 vcc, s18, v7
	v_add_u32_e32 v6, s23, v6
	s_or_b64 s[14:15], vcc, s[14:15]
	v_add_u32_e32 v2, s24, v2
	s_andn2_b64 exec, exec, s[14:15]
	s_cbranch_execnz .LBB60_2
.LBB60_5:
	s_or_b64 exec, exec, s[2:3]
	s_cmp_lt_i32 s18, 2
	s_waitcnt lgkmcnt(0)
	s_barrier
	s_cbranch_scc1 .LBB60_29
; %bb.6:
	s_load_dwordx4 s[20:23], s[4:5], 0x10
	s_mul_i32 s2, s7, s13
	s_mul_hi_u32 s3, s7, s12
	s_add_i32 s4, s3, s2
	s_mul_i32 s5, s6, s12
	s_add_i32 s5, s4, s5
	s_mul_i32 s4, s7, s12
	s_waitcnt lgkmcnt(0)
	s_ashr_i32 s3, s22, 31
	s_lshl_b64 s[4:5], s[4:5], 4
	s_mov_b32 s2, s22
	s_add_u32 s22, s10, s4
	s_addc_u32 s40, s11, s5
	s_lshl_b32 s41, s18, 4
	s_add_i32 s42, s41, 0
	s_cmpk_lg_i32 s16, 0xb5
	s_mul_i32 s4, s8, s6
	s_mul_hi_u32 s5, s8, s7
	s_cselect_b64 s[12:13], -1, 0
	s_add_i32 s4, s5, s4
	s_mul_i32 s5, s9, s7
	s_add_i32 s5, s4, s5
	s_mul_i32 s4, s8, s7
	s_lshl_b64 s[4:5], s[4:5], 4
	s_lshl_b64 s[2:3], s[2:3], 4
	s_add_u32 s2, s4, s2
	s_addc_u32 s3, s5, s3
	s_add_u32 s16, s20, s2
	s_addc_u32 s43, s21, s3
	s_ashr_i32 s3, s23, 31
	s_mov_b32 s2, s23
	s_lshl_b32 s8, s23, 1
	s_lshl_b64 s[14:15], s[2:3], 4
	s_lshl_b32 s44, s19, 4
	s_add_u32 s20, s16, 32
	v_add_u32_e32 v4, 16, v1
	s_mov_b32 s11, 0
	s_addc_u32 s21, s43, 0
	v_mul_lo_u32 v4, s18, v4
	s_add_i32 s47, s41, 16
	s_mov_b32 s10, 1
	v_or_b32_e32 v2, 8, v1
	v_mov_b32_e32 v3, 0
	s_mov_b32 s45, s11
	v_mul_lo_u32 v12, v0, s23
	s_mul_i32 s46, s23, s19
	v_add3_u32 v13, v4, v1, 0
	s_mul_i32 s47, s47, s19
	v_add_u32_e32 v14, 0, v1
	s_mov_b64 s[24:25], 0
	s_mov_b32 s26, s23
	s_branch .LBB60_8
.LBB60_7:                               ;   in Loop: Header=BB60_8 Depth=1
	s_or_b64 exec, exec, s[2:3]
	s_add_i32 s10, s10, 1
	s_add_u32 s24, s24, 16
	s_addc_u32 s25, s25, 0
	s_add_i32 s8, s8, s23
	s_add_u32 s20, s20, 16
	s_addc_u32 s21, s21, 0
	s_add_i32 s26, s26, s23
	s_cmp_eq_u32 s10, s18
	s_waitcnt lgkmcnt(0)
	s_barrier
	s_cbranch_scc1 .LBB60_29
.LBB60_8:                               ; =>This Loop Header: Depth=1
                                        ;     Child Loop BB60_12 Depth 2
                                        ;       Child Loop BB60_14 Depth 3
                                        ;     Child Loop BB60_20 Depth 2
                                        ;       Child Loop BB60_22 Depth 3
	;; [unrolled: 2-line block ×3, first 2 shown]
	s_mul_i32 s2, s10, s18
	s_not_b32 s49, s10
	s_lshl_b32 s2, s2, 4
	s_add_i32 s49, s49, s17
	s_add_i32 s48, s42, s2
	s_mov_b64 s[4:5], -1
	s_and_b64 vcc, exec, s[12:13]
	v_cmp_gt_u32_e64 s[2:3], s10, v0
	s_cbranch_vccz .LBB60_16
; %bb.9:                                ;   in Loop: Header=BB60_8 Depth=1
	s_and_saveexec_b64 s[28:29], s[2:3]
	s_cbranch_execz .LBB60_15
; %bb.10:                               ;   in Loop: Header=BB60_8 Depth=1
	s_ashr_i32 s9, s8, 31
	s_lshl_b64 s[2:3], s[8:9], 4
	s_add_u32 s2, s16, s2
	s_addc_u32 s3, s43, s3
	s_cmp_gt_i32 s49, 0
	s_cselect_b64 s[30:31], -1, 0
	s_lshl_b64 s[4:5], s[10:11], 4
	s_add_u32 s4, s22, s4
	s_addc_u32 s5, s40, s5
	s_load_dwordx4 s[4:7], s[4:5], 0x0
	s_mov_b64 s[34:35], 0
	v_pk_mov_b32 v[4:5], v[2:3], v[2:3] op_sel:[0,1]
	v_mov_b32_e32 v10, v0
	s_branch .LBB60_12
.LBB60_11:                              ;   in Loop: Header=BB60_12 Depth=2
	v_lshlrev_b32_e32 v11, 4, v10
	v_add_u32_e32 v15, s48, v11
	ds_read2_b64 v[16:19], v15 offset1:1
	s_waitcnt lgkmcnt(0)
	v_mul_f64 v[20:21], v[6:7], s[6:7]
	v_mul_f64 v[22:23], v[8:9], s[6:7]
	v_fma_f64 v[8:9], v[8:9], s[4:5], -v[20:21]
	v_fmac_f64_e32 v[22:23], s[4:5], v[6:7]
	v_add_u32_e32 v10, s19, v10
	v_add_f64 v[6:7], v[16:17], v[8:9]
	v_add_f64 v[8:9], v[22:23], v[18:19]
	v_add_u32_e32 v11, 0, v11
	v_cmp_le_u32_e32 vcc, s10, v10
	ds_write2_b64 v11, v[6:7], v[8:9] offset1:1
	v_mov_b32_e32 v6, s45
	s_or_b64 s[34:35], vcc, s[34:35]
	v_add_co_u32_e32 v4, vcc, s44, v4
	v_addc_co_u32_e32 v5, vcc, v5, v6, vcc
	s_andn2_b64 exec, exec, s[34:35]
	s_cbranch_execz .LBB60_15
.LBB60_12:                              ;   Parent Loop BB60_8 Depth=1
                                        ; =>  This Loop Header: Depth=2
                                        ;       Child Loop BB60_14 Depth 3
	v_pk_mov_b32 v[6:7], 0, 0
	s_andn2_b64 vcc, exec, s[30:31]
	v_pk_mov_b32 v[8:9], v[6:7], v[6:7] op_sel:[0,1]
	s_cbranch_vccnz .LBB60_11
; %bb.13:                               ;   in Loop: Header=BB60_12 Depth=2
	v_pk_mov_b32 v[6:7], 0, 0
	s_mov_b32 s9, 0
	s_mov_b64 s[36:37], s[2:3]
	v_pk_mov_b32 v[8:9], v[6:7], v[6:7] op_sel:[0,1]
.LBB60_14:                              ;   Parent Loop BB60_8 Depth=1
                                        ;     Parent Loop BB60_12 Depth=2
                                        ; =>    This Inner Loop Header: Depth=3
	v_mov_b32_e32 v11, s37
	v_add_co_u32_e32 v16, vcc, s36, v4
	v_addc_co_u32_e32 v17, vcc, v11, v5, vcc
	global_load_dwordx4 v[16:19], v[16:17], off offset:-8
	s_add_u32 s50, s36, s24
	s_addc_u32 s51, s37, s25
	s_load_dwordx4 s[52:55], s[50:51], 0x10
	s_add_i32 s9, s9, 1
	s_add_u32 s36, s36, s14
	s_addc_u32 s37, s37, s15
	s_cmp_ge_i32 s9, s49
	s_waitcnt vmcnt(0) lgkmcnt(0)
	v_mul_f64 v[20:21], s[54:55], v[18:19]
	v_mul_f64 v[22:23], s[54:55], v[16:17]
	v_fmac_f64_e32 v[20:21], s[52:53], v[16:17]
	v_fma_f64 v[16:17], s[52:53], v[18:19], -v[22:23]
	v_add_f64 v[8:9], v[8:9], v[20:21]
	v_add_f64 v[6:7], v[6:7], v[16:17]
	s_cbranch_scc0 .LBB60_14
	s_branch .LBB60_11
.LBB60_15:                              ;   in Loop: Header=BB60_8 Depth=1
	s_or_b64 exec, exec, s[28:29]
	s_mov_b64 s[4:5], 0
.LBB60_16:                              ;   in Loop: Header=BB60_8 Depth=1
	s_andn2_b64 vcc, exec, s[4:5]
	s_cbranch_vccnz .LBB60_24
; %bb.17:                               ;   in Loop: Header=BB60_8 Depth=1
	v_cmp_gt_u32_e32 vcc, s10, v0
	s_and_saveexec_b64 s[2:3], vcc
	s_cbranch_execz .LBB60_23
; %bb.18:                               ;   in Loop: Header=BB60_8 Depth=1
	s_ashr_i32 s27, s26, 31
	s_lshl_b64 s[28:29], s[26:27], 4
	s_cmp_gt_i32 s49, 0
	s_cselect_b64 s[30:31], -1, 0
	s_lshl_b64 s[4:5], s[10:11], 4
	s_add_u32 s4, s22, s4
	s_addc_u32 s5, s40, s5
	s_load_dwordx4 s[4:7], s[4:5], 0x0
	s_mov_b64 s[34:35], 0
	v_mov_b32_e32 v4, v12
	v_mov_b32_e32 v15, v0
	s_branch .LBB60_20
.LBB60_19:                              ;   in Loop: Header=BB60_20 Depth=2
	v_lshlrev_b32_e32 v5, 4, v15
	v_add_u32_e32 v10, s48, v5
	ds_read2_b64 v[16:19], v10 offset1:1
	s_waitcnt lgkmcnt(0)
	v_mul_f64 v[10:11], v[6:7], s[6:7]
	v_mul_f64 v[20:21], v[8:9], s[6:7]
	v_add_u32_e32 v15, s19, v15
	v_fma_f64 v[8:9], v[8:9], s[4:5], -v[10:11]
	v_fmac_f64_e32 v[20:21], s[4:5], v[6:7]
	v_cmp_le_u32_e32 vcc, s10, v15
	v_add_f64 v[6:7], v[16:17], v[8:9]
	v_add_f64 v[8:9], v[20:21], v[18:19]
	v_add_u32_e32 v5, 0, v5
	s_or_b64 s[34:35], vcc, s[34:35]
	v_add_u32_e32 v4, s46, v4
	ds_write2_b64 v5, v[6:7], v[8:9] offset1:1
	s_andn2_b64 exec, exec, s[34:35]
	s_cbranch_execz .LBB60_23
.LBB60_20:                              ;   Parent Loop BB60_8 Depth=1
                                        ; =>  This Loop Header: Depth=2
                                        ;       Child Loop BB60_22 Depth 3
	v_pk_mov_b32 v[6:7], 0, 0
	s_andn2_b64 vcc, exec, s[30:31]
	v_pk_mov_b32 v[8:9], v[6:7], v[6:7] op_sel:[0,1]
	s_cbranch_vccnz .LBB60_19
; %bb.21:                               ;   in Loop: Header=BB60_20 Depth=2
	v_ashrrev_i32_e32 v5, 31, v4
	v_pk_mov_b32 v[6:7], 0, 0
	v_lshlrev_b64 v[10:11], 4, v[4:5]
	s_mov_b32 s9, 0
	s_mov_b64 s[36:37], s[20:21]
	v_pk_mov_b32 v[8:9], v[6:7], v[6:7] op_sel:[0,1]
.LBB60_22:                              ;   Parent Loop BB60_8 Depth=1
                                        ;     Parent Loop BB60_20 Depth=2
                                        ; =>    This Inner Loop Header: Depth=3
	v_mov_b32_e32 v5, s37
	v_add_co_u32_e32 v16, vcc, s36, v10
	v_addc_co_u32_e32 v17, vcc, v5, v11, vcc
	global_load_dwordx4 v[16:19], v[16:17], off
	s_add_u32 s50, s36, s28
	s_addc_u32 s51, s37, s29
	s_load_dwordx4 s[52:55], s[50:51], 0x0
	s_add_i32 s9, s9, 1
	s_add_u32 s36, s36, 16
	s_addc_u32 s37, s37, 0
	s_cmp_ge_i32 s9, s49
	s_waitcnt vmcnt(0) lgkmcnt(0)
	v_mul_f64 v[20:21], v[18:19], s[54:55]
	v_mul_f64 v[18:19], v[18:19], s[52:53]
	v_fmac_f64_e32 v[20:21], s[52:53], v[16:17]
	v_fma_f64 v[16:17], v[16:17], s[54:55], -v[18:19]
	v_add_f64 v[8:9], v[8:9], v[20:21]
	v_add_f64 v[6:7], v[6:7], v[16:17]
	s_cbranch_scc0 .LBB60_22
	s_branch .LBB60_19
.LBB60_23:                              ;   in Loop: Header=BB60_8 Depth=1
	s_or_b64 exec, exec, s[2:3]
.LBB60_24:                              ;   in Loop: Header=BB60_8 Depth=1
	v_cmp_gt_u32_e32 vcc, s10, v0
	s_waitcnt lgkmcnt(0)
	s_barrier
	s_and_saveexec_b64 s[2:3], vcc
	s_cbranch_execz .LBB60_7
; %bb.25:                               ;   in Loop: Header=BB60_8 Depth=1
	s_mov_b64 s[4:5], 0
	v_mov_b32_e32 v8, v14
	v_mov_b32_e32 v9, v13
	;; [unrolled: 1-line block ×3, first 2 shown]
.LBB60_26:                              ;   Parent Loop BB60_8 Depth=1
                                        ; =>  This Loop Header: Depth=2
                                        ;       Child Loop BB60_27 Depth 3
	v_pk_mov_b32 v[4:5], 0, 0
	s_mov_b64 s[6:7], 0
	v_mov_b32_e32 v11, v8
	v_mov_b32_e32 v15, v9
	;; [unrolled: 1-line block ×3, first 2 shown]
	v_pk_mov_b32 v[6:7], v[4:5], v[4:5] op_sel:[0,1]
.LBB60_27:                              ;   Parent Loop BB60_8 Depth=1
                                        ;     Parent Loop BB60_26 Depth=2
                                        ; =>    This Inner Loop Header: Depth=3
	ds_read2_b64 v[18:21], v11 offset1:1
	ds_read2_b64 v[22:25], v15 offset1:1
	v_add_u32_e32 v16, 1, v16
	v_cmp_le_u32_e32 vcc, s10, v16
	v_add_u32_e32 v15, s41, v15
	v_add_u32_e32 v11, 16, v11
	s_waitcnt lgkmcnt(0)
	v_mul_f64 v[26:27], v[20:21], v[24:25]
	v_mul_f64 v[24:25], v[18:19], v[24:25]
	v_fma_f64 v[18:19], v[18:19], v[22:23], -v[26:27]
	v_fmac_f64_e32 v[24:25], v[20:21], v[22:23]
	s_or_b64 s[6:7], vcc, s[6:7]
	v_add_f64 v[4:5], v[4:5], v[18:19]
	v_add_f64 v[6:7], v[6:7], v[24:25]
	s_andn2_b64 exec, exec, s[6:7]
	s_cbranch_execnz .LBB60_27
; %bb.28:                               ;   in Loop: Header=BB60_26 Depth=2
	s_or_b64 exec, exec, s[6:7]
	v_lshl_add_u32 v11, v10, 4, s48
	v_add_u32_e32 v10, s19, v10
	v_cmp_le_u32_e32 vcc, s10, v10
	v_add_u32_e32 v9, s47, v9
	s_or_b64 s[4:5], vcc, s[4:5]
	v_add_u32_e32 v8, s44, v8
	ds_write2_b64 v11, v[4:5], v[6:7] offset1:1
	s_andn2_b64 exec, exec, s[4:5]
	s_cbranch_execnz .LBB60_26
	s_branch .LBB60_7
.LBB60_29:
	s_and_saveexec_b64 s[2:3], s[0:1]
	s_cbranch_execz .LBB60_34
; %bb.30:
	v_mad_u64_u32 v[2:3], s[0:1], v0, s33, v[0:1]
	v_add_u32_e32 v3, 16, v1
	s_lshl_b32 s7, s18, 4
	s_add_i32 s6, s33, 1
	v_mul_lo_u32 v3, s18, v3
	s_add_i32 s8, s7, 16
	s_mul_i32 s6, s6, s19
	v_add3_u32 v1, v3, v1, 0
	s_mul_i32 s8, s8, s19
	s_mov_b64 s[2:3], 0
	v_mov_b32_e32 v3, s39
.LBB60_31:                              ; =>This Loop Header: Depth=1
                                        ;     Child Loop BB60_32 Depth 2
	s_mov_b64 s[4:5], 0
	v_mov_b32_e32 v6, v1
	v_mov_b32_e32 v4, v2
	;; [unrolled: 1-line block ×3, first 2 shown]
.LBB60_32:                              ;   Parent Loop BB60_31 Depth=1
                                        ; =>  This Inner Loop Header: Depth=2
	ds_read2_b64 v[8:11], v6 offset1:1
	v_ashrrev_i32_e32 v5, 31, v4
	v_add_u32_e32 v7, 1, v7
	v_lshlrev_b64 v[12:13], 4, v[4:5]
	v_cmp_le_i32_e32 vcc, s18, v7
	v_add_co_u32_e64 v12, s[0:1], s38, v12
	v_add_u32_e32 v6, s7, v6
	v_add_u32_e32 v4, s33, v4
	v_addc_co_u32_e64 v13, s[0:1], v3, v13, s[0:1]
	s_or_b64 s[4:5], vcc, s[4:5]
	s_waitcnt lgkmcnt(0)
	global_store_dwordx4 v[12:13], v[8:11], off
	s_andn2_b64 exec, exec, s[4:5]
	s_cbranch_execnz .LBB60_32
; %bb.33:                               ;   in Loop: Header=BB60_31 Depth=1
	s_or_b64 exec, exec, s[4:5]
	v_add_u32_e32 v0, s19, v0
	v_cmp_le_i32_e32 vcc, s18, v0
	v_add_u32_e32 v2, s6, v2
	s_or_b64 s[2:3], vcc, s[2:3]
	v_add_u32_e32 v1, s8, v1
	s_andn2_b64 exec, exec, s[2:3]
	s_cbranch_execnz .LBB60_31
.LBB60_34:
	s_endpgm
	.section	.rodata,"a",@progbits
	.p2align	6, 0x0
	.amdhsa_kernel _ZN9rocsolver6v33100L20larft_kernel_forwardI19rocblas_complex_numIdEPS3_EEv15rocblas_storev_iiT0_iilPT_lS8_il
		.amdhsa_group_segment_fixed_size 0
		.amdhsa_private_segment_fixed_size 0
		.amdhsa_kernarg_size 336
		.amdhsa_user_sgpr_count 6
		.amdhsa_user_sgpr_private_segment_buffer 1
		.amdhsa_user_sgpr_dispatch_ptr 0
		.amdhsa_user_sgpr_queue_ptr 0
		.amdhsa_user_sgpr_kernarg_segment_ptr 1
		.amdhsa_user_sgpr_dispatch_id 0
		.amdhsa_user_sgpr_flat_scratch_init 0
		.amdhsa_user_sgpr_kernarg_preload_length 0
		.amdhsa_user_sgpr_kernarg_preload_offset 0
		.amdhsa_user_sgpr_private_segment_size 0
		.amdhsa_uses_dynamic_stack 0
		.amdhsa_system_sgpr_private_segment_wavefront_offset 0
		.amdhsa_system_sgpr_workgroup_id_x 1
		.amdhsa_system_sgpr_workgroup_id_y 1
		.amdhsa_system_sgpr_workgroup_id_z 0
		.amdhsa_system_sgpr_workgroup_info 0
		.amdhsa_system_vgpr_workitem_id 0
		.amdhsa_next_free_vgpr 28
		.amdhsa_next_free_sgpr 56
		.amdhsa_accum_offset 28
		.amdhsa_reserve_vcc 1
		.amdhsa_reserve_flat_scratch 0
		.amdhsa_float_round_mode_32 0
		.amdhsa_float_round_mode_16_64 0
		.amdhsa_float_denorm_mode_32 3
		.amdhsa_float_denorm_mode_16_64 3
		.amdhsa_dx10_clamp 1
		.amdhsa_ieee_mode 1
		.amdhsa_fp16_overflow 0
		.amdhsa_tg_split 0
		.amdhsa_exception_fp_ieee_invalid_op 0
		.amdhsa_exception_fp_denorm_src 0
		.amdhsa_exception_fp_ieee_div_zero 0
		.amdhsa_exception_fp_ieee_overflow 0
		.amdhsa_exception_fp_ieee_underflow 0
		.amdhsa_exception_fp_ieee_inexact 0
		.amdhsa_exception_int_div_zero 0
	.end_amdhsa_kernel
	.section	.text._ZN9rocsolver6v33100L20larft_kernel_forwardI19rocblas_complex_numIdEPS3_EEv15rocblas_storev_iiT0_iilPT_lS8_il,"axG",@progbits,_ZN9rocsolver6v33100L20larft_kernel_forwardI19rocblas_complex_numIdEPS3_EEv15rocblas_storev_iiT0_iilPT_lS8_il,comdat
.Lfunc_end60:
	.size	_ZN9rocsolver6v33100L20larft_kernel_forwardI19rocblas_complex_numIdEPS3_EEv15rocblas_storev_iiT0_iilPT_lS8_il, .Lfunc_end60-_ZN9rocsolver6v33100L20larft_kernel_forwardI19rocblas_complex_numIdEPS3_EEv15rocblas_storev_iiT0_iilPT_lS8_il
                                        ; -- End function
	.section	.AMDGPU.csdata,"",@progbits
; Kernel info:
; codeLenInByte = 1712
; NumSgprs: 60
; NumVgprs: 28
; NumAgprs: 0
; TotalNumVgprs: 28
; ScratchSize: 0
; MemoryBound: 0
; FloatMode: 240
; IeeeMode: 1
; LDSByteSize: 0 bytes/workgroup (compile time only)
; SGPRBlocks: 7
; VGPRBlocks: 3
; NumSGPRsForWavesPerEU: 60
; NumVGPRsForWavesPerEU: 28
; AccumOffset: 28
; Occupancy: 8
; WaveLimiterHint : 0
; COMPUTE_PGM_RSRC2:SCRATCH_EN: 0
; COMPUTE_PGM_RSRC2:USER_SGPR: 6
; COMPUTE_PGM_RSRC2:TRAP_HANDLER: 0
; COMPUTE_PGM_RSRC2:TGID_X_EN: 1
; COMPUTE_PGM_RSRC2:TGID_Y_EN: 1
; COMPUTE_PGM_RSRC2:TGID_Z_EN: 0
; COMPUTE_PGM_RSRC2:TIDIG_COMP_CNT: 0
; COMPUTE_PGM_RSRC3_GFX90A:ACCUM_OFFSET: 6
; COMPUTE_PGM_RSRC3_GFX90A:TG_SPLIT: 0
	.section	.text._ZN9rocsolver6v33100L13conj_in_placeI19rocblas_complex_numIdEiPS3_TnNSt9enable_ifIX18rocblas_is_complexIT_EEiE4typeELi0EEEvT0_S9_T1_lS9_l,"axG",@progbits,_ZN9rocsolver6v33100L13conj_in_placeI19rocblas_complex_numIdEiPS3_TnNSt9enable_ifIX18rocblas_is_complexIT_EEiE4typeELi0EEEvT0_S9_T1_lS9_l,comdat
	.globl	_ZN9rocsolver6v33100L13conj_in_placeI19rocblas_complex_numIdEiPS3_TnNSt9enable_ifIX18rocblas_is_complexIT_EEiE4typeELi0EEEvT0_S9_T1_lS9_l ; -- Begin function _ZN9rocsolver6v33100L13conj_in_placeI19rocblas_complex_numIdEiPS3_TnNSt9enable_ifIX18rocblas_is_complexIT_EEiE4typeELi0EEEvT0_S9_T1_lS9_l
	.p2align	8
	.type	_ZN9rocsolver6v33100L13conj_in_placeI19rocblas_complex_numIdEiPS3_TnNSt9enable_ifIX18rocblas_is_complexIT_EEiE4typeELi0EEEvT0_S9_T1_lS9_l,@function
_ZN9rocsolver6v33100L13conj_in_placeI19rocblas_complex_numIdEiPS3_TnNSt9enable_ifIX18rocblas_is_complexIT_EEiE4typeELi0EEEvT0_S9_T1_lS9_l: ; @_ZN9rocsolver6v33100L13conj_in_placeI19rocblas_complex_numIdEiPS3_TnNSt9enable_ifIX18rocblas_is_complexIT_EEiE4typeELi0EEEvT0_S9_T1_lS9_l
; %bb.0:
	s_load_dword s2, s[4:5], 0x34
	s_load_dwordx2 s[0:1], s[4:5], 0x0
	v_and_b32_e32 v1, 0x3ff, v0
	v_bfe_u32 v0, v0, 10, 10
	s_waitcnt lgkmcnt(0)
	s_lshr_b32 s3, s2, 16
	s_and_b32 s2, s2, 0xffff
	s_mul_i32 s6, s6, s2
	s_mul_i32 s7, s7, s3
	v_add_u32_e32 v2, s6, v1
	v_add_u32_e32 v0, s7, v0
	v_cmp_gt_i32_e32 vcc, s0, v2
	v_cmp_gt_i32_e64 s[0:1], s1, v0
	s_and_b64 s[0:1], vcc, s[0:1]
	s_and_saveexec_b64 s[2:3], s[0:1]
	s_cbranch_execz .LBB61_2
; %bb.1:
	s_load_dwordx2 s[6:7], s[4:5], 0x20
	s_load_dwordx4 s[0:3], s[4:5], 0x8
	s_load_dword s9, s[4:5], 0x18
	s_ashr_i32 s4, s8, 31
	v_ashrrev_i32_e32 v3, 31, v2
	s_waitcnt lgkmcnt(0)
	s_mul_i32 s5, s8, s7
	s_mul_hi_u32 s7, s8, s6
	s_add_i32 s5, s7, s5
	s_mul_i32 s4, s4, s6
	s_add_i32 s5, s5, s4
	s_mul_i32 s4, s8, s6
	s_lshl_b64 s[4:5], s[4:5], 4
	s_add_u32 s4, s0, s4
	s_addc_u32 s5, s1, s5
	s_lshl_b64 s[0:1], s[2:3], 4
	s_add_u32 s2, s4, s0
	s_addc_u32 s3, s5, s1
	v_mad_i64_i32 v[0:1], s[0:1], v0, s9, 0
	v_lshlrev_b64 v[4:5], 4, v[0:1]
	v_mov_b32_e32 v1, s3
	v_add_co_u32_e32 v6, vcc, s2, v4
	v_addc_co_u32_e32 v1, vcc, v1, v5, vcc
	v_lshlrev_b64 v[4:5], 4, v[2:3]
	v_add_co_u32_e32 v4, vcc, v6, v4
	v_addc_co_u32_e32 v5, vcc, v1, v5, vcc
	global_load_dwordx4 v[4:7], v[4:5], off
	v_add_u32_e32 v0, v0, v2
	v_ashrrev_i32_e32 v1, 31, v0
	v_lshlrev_b64 v[0:1], 4, v[0:1]
	v_mov_b32_e32 v2, s3
	v_add_co_u32_e32 v0, vcc, s2, v0
	v_addc_co_u32_e32 v1, vcc, v2, v1, vcc
	s_waitcnt vmcnt(0)
	v_xor_b32_e32 v7, 0x80000000, v7
	global_store_dwordx4 v[0:1], v[4:7], off
.LBB61_2:
	s_endpgm
	.section	.rodata,"a",@progbits
	.p2align	6, 0x0
	.amdhsa_kernel _ZN9rocsolver6v33100L13conj_in_placeI19rocblas_complex_numIdEiPS3_TnNSt9enable_ifIX18rocblas_is_complexIT_EEiE4typeELi0EEEvT0_S9_T1_lS9_l
		.amdhsa_group_segment_fixed_size 0
		.amdhsa_private_segment_fixed_size 0
		.amdhsa_kernarg_size 296
		.amdhsa_user_sgpr_count 6
		.amdhsa_user_sgpr_private_segment_buffer 1
		.amdhsa_user_sgpr_dispatch_ptr 0
		.amdhsa_user_sgpr_queue_ptr 0
		.amdhsa_user_sgpr_kernarg_segment_ptr 1
		.amdhsa_user_sgpr_dispatch_id 0
		.amdhsa_user_sgpr_flat_scratch_init 0
		.amdhsa_user_sgpr_kernarg_preload_length 0
		.amdhsa_user_sgpr_kernarg_preload_offset 0
		.amdhsa_user_sgpr_private_segment_size 0
		.amdhsa_uses_dynamic_stack 0
		.amdhsa_system_sgpr_private_segment_wavefront_offset 0
		.amdhsa_system_sgpr_workgroup_id_x 1
		.amdhsa_system_sgpr_workgroup_id_y 1
		.amdhsa_system_sgpr_workgroup_id_z 1
		.amdhsa_system_sgpr_workgroup_info 0
		.amdhsa_system_vgpr_workitem_id 1
		.amdhsa_next_free_vgpr 8
		.amdhsa_next_free_sgpr 10
		.amdhsa_accum_offset 8
		.amdhsa_reserve_vcc 1
		.amdhsa_reserve_flat_scratch 0
		.amdhsa_float_round_mode_32 0
		.amdhsa_float_round_mode_16_64 0
		.amdhsa_float_denorm_mode_32 3
		.amdhsa_float_denorm_mode_16_64 3
		.amdhsa_dx10_clamp 1
		.amdhsa_ieee_mode 1
		.amdhsa_fp16_overflow 0
		.amdhsa_tg_split 0
		.amdhsa_exception_fp_ieee_invalid_op 0
		.amdhsa_exception_fp_denorm_src 0
		.amdhsa_exception_fp_ieee_div_zero 0
		.amdhsa_exception_fp_ieee_overflow 0
		.amdhsa_exception_fp_ieee_underflow 0
		.amdhsa_exception_fp_ieee_inexact 0
		.amdhsa_exception_int_div_zero 0
	.end_amdhsa_kernel
	.section	.text._ZN9rocsolver6v33100L13conj_in_placeI19rocblas_complex_numIdEiPS3_TnNSt9enable_ifIX18rocblas_is_complexIT_EEiE4typeELi0EEEvT0_S9_T1_lS9_l,"axG",@progbits,_ZN9rocsolver6v33100L13conj_in_placeI19rocblas_complex_numIdEiPS3_TnNSt9enable_ifIX18rocblas_is_complexIT_EEiE4typeELi0EEEvT0_S9_T1_lS9_l,comdat
.Lfunc_end61:
	.size	_ZN9rocsolver6v33100L13conj_in_placeI19rocblas_complex_numIdEiPS3_TnNSt9enable_ifIX18rocblas_is_complexIT_EEiE4typeELi0EEEvT0_S9_T1_lS9_l, .Lfunc_end61-_ZN9rocsolver6v33100L13conj_in_placeI19rocblas_complex_numIdEiPS3_TnNSt9enable_ifIX18rocblas_is_complexIT_EEiE4typeELi0EEEvT0_S9_T1_lS9_l
                                        ; -- End function
	.section	.AMDGPU.csdata,"",@progbits
; Kernel info:
; codeLenInByte = 276
; NumSgprs: 14
; NumVgprs: 8
; NumAgprs: 0
; TotalNumVgprs: 8
; ScratchSize: 0
; MemoryBound: 0
; FloatMode: 240
; IeeeMode: 1
; LDSByteSize: 0 bytes/workgroup (compile time only)
; SGPRBlocks: 1
; VGPRBlocks: 0
; NumSGPRsForWavesPerEU: 14
; NumVGPRsForWavesPerEU: 8
; AccumOffset: 8
; Occupancy: 8
; WaveLimiterHint : 0
; COMPUTE_PGM_RSRC2:SCRATCH_EN: 0
; COMPUTE_PGM_RSRC2:USER_SGPR: 6
; COMPUTE_PGM_RSRC2:TRAP_HANDLER: 0
; COMPUTE_PGM_RSRC2:TGID_X_EN: 1
; COMPUTE_PGM_RSRC2:TGID_Y_EN: 1
; COMPUTE_PGM_RSRC2:TGID_Z_EN: 1
; COMPUTE_PGM_RSRC2:TIDIG_COMP_CNT: 1
; COMPUTE_PGM_RSRC3_GFX90A:ACCUM_OFFSET: 1
; COMPUTE_PGM_RSRC3_GFX90A:TG_SPLIT: 0
	.section	.text._ZN9rocsolver6v33100L21larft_kernel_backwardI19rocblas_complex_numIdEPS3_EEv15rocblas_storev_iiT0_iilPT_lS8_il,"axG",@progbits,_ZN9rocsolver6v33100L21larft_kernel_backwardI19rocblas_complex_numIdEPS3_EEv15rocblas_storev_iiT0_iilPT_lS8_il,comdat
	.globl	_ZN9rocsolver6v33100L21larft_kernel_backwardI19rocblas_complex_numIdEPS3_EEv15rocblas_storev_iiT0_iilPT_lS8_il ; -- Begin function _ZN9rocsolver6v33100L21larft_kernel_backwardI19rocblas_complex_numIdEPS3_EEv15rocblas_storev_iiT0_iilPT_lS8_il
	.p2align	8
	.type	_ZN9rocsolver6v33100L21larft_kernel_backwardI19rocblas_complex_numIdEPS3_EEv15rocblas_storev_iiT0_iilPT_lS8_il,@function
_ZN9rocsolver6v33100L21larft_kernel_backwardI19rocblas_complex_numIdEPS3_EEv15rocblas_storev_iiT0_iilPT_lS8_il: ; @_ZN9rocsolver6v33100L21larft_kernel_backwardI19rocblas_complex_numIdEPS3_EEv15rocblas_storev_iiT0_iilPT_lS8_il
; %bb.0:
	s_load_dword s2, s[4:5], 0x5c
	s_load_dword s30, s[4:5], 0x40
	s_load_dwordx2 s[0:1], s[4:5], 0x48
	s_load_dwordx4 s[16:19], s[4:5], 0x0
	s_load_dwordx8 s[8:15], s[4:5], 0x20
	s_waitcnt lgkmcnt(0)
	s_and_b32 s19, s2, 0xffff
	s_ashr_i32 s6, s7, 31
	s_mul_i32 s1, s7, s1
	s_mul_hi_u32 s2, s7, s0
	s_add_i32 s1, s2, s1
	s_mul_i32 s2, s6, s0
	s_add_i32 s1, s1, s2
	s_mul_i32 s0, s7, s0
	s_lshl_b64 s[0:1], s[0:1], 4
	s_add_u32 s31, s14, s0
	s_addc_u32 s33, s15, s1
	v_cmp_gt_i32_e64 s[0:1], s18, v0
	v_add_u32_e32 v1, 1, v0
	s_and_saveexec_b64 s[2:3], s[0:1]
	s_cbranch_execz .LBB62_5
; %bb.1:
	s_lshl_b32 s22, s18, 4
	s_add_i32 s14, s22, 0
	v_add_u32_e32 v4, 1, v0
	v_lshl_add_u32 v5, v0, 4, s14
	s_lshl_b32 s23, s19, 4
	s_mov_b64 s[14:15], 0
	v_mov_b32_e32 v6, s33
	v_mov_b32_e32 v7, v0
.LBB62_2:                               ; =>This Loop Header: Depth=1
                                        ;     Child Loop BB62_3 Depth 2
	s_mov_b64 s[20:21], 0
	v_mov_b32_e32 v2, v7
	v_mov_b32_e32 v8, v5
	s_mov_b32 s24, 0
.LBB62_3:                               ;   Parent Loop BB62_2 Depth=1
                                        ; =>  This Inner Loop Header: Depth=2
	v_ashrrev_i32_e32 v3, 31, v2
	v_lshlrev_b64 v[10:11], 4, v[2:3]
	v_add_co_u32_e32 v10, vcc, s31, v10
	v_addc_co_u32_e32 v11, vcc, v6, v11, vcc
	global_load_dwordx4 v[10:13], v[10:11], off
	s_add_i32 s24, s24, 1
	v_cmp_eq_u32_e32 vcc, s24, v4
	v_add_u32_e32 v2, s30, v2
	s_or_b64 s[20:21], vcc, s[20:21]
	s_waitcnt vmcnt(0)
	ds_write2_b64 v8, v[10:11], v[12:13] offset1:1
	v_add_u32_e32 v8, s22, v8
	s_andn2_b64 exec, exec, s[20:21]
	s_cbranch_execnz .LBB62_3
; %bb.4:                                ;   in Loop: Header=BB62_2 Depth=1
	s_or_b64 exec, exec, s[20:21]
	v_add_u32_e32 v7, s19, v7
	v_cmp_le_i32_e32 vcc, s18, v7
	v_add_u32_e32 v4, s19, v4
	s_or_b64 s[14:15], vcc, s[14:15]
	v_add_u32_e32 v5, s23, v5
	s_andn2_b64 exec, exec, s[14:15]
	s_cbranch_execnz .LBB62_2
.LBB62_5:
	s_or_b64 exec, exec, s[2:3]
	s_cmp_lt_i32 s18, 2
	s_waitcnt lgkmcnt(0)
	s_barrier
	s_cbranch_scc1 .LBB62_29
; %bb.6:
	s_load_dwordx4 s[20:23], s[4:5], 0x10
	s_mul_i32 s2, s7, s13
	s_mul_hi_u32 s3, s7, s12
	s_add_i32 s4, s3, s2
	s_mul_i32 s5, s6, s12
	s_add_i32 s5, s4, s5
	s_mul_i32 s4, s7, s12
	s_waitcnt lgkmcnt(0)
	s_ashr_i32 s3, s22, 31
	s_lshl_b64 s[4:5], s[4:5], 4
	s_mov_b32 s2, s22
	s_add_u32 s22, s10, s4
	s_addc_u32 s34, s11, s5
	s_lshl_b32 s35, s18, 4
	s_add_i32 s36, s35, 0
	s_add_i32 s10, s18, -2
	s_sub_i32 s37, s17, s18
	s_cmpk_lg_i32 s16, 0xb5
	s_mul_i32 s4, s8, s6
	s_mul_hi_u32 s5, s8, s7
	s_cselect_b64 s[12:13], -1, 0
	s_add_i32 s4, s5, s4
	s_mul_i32 s5, s9, s7
	s_add_i32 s5, s4, s5
	s_mul_i32 s4, s8, s7
	s_lshl_b64 s[4:5], s[4:5], 4
	s_lshl_b64 s[2:3], s[2:3], 4
	s_mov_b32 s11, 0
	s_add_u32 s6, s4, s2
	s_addc_u32 s7, s5, s3
	s_lshl_b64 s[2:3], s[10:11], 4
	s_add_u32 s4, s20, s2
	s_addc_u32 s5, s21, s3
	s_add_u32 s4, s4, s6
	v_lshlrev_b32_e32 v4, 4, v0
	s_addc_u32 s5, s5, s7
	v_mov_b32_e32 v2, s5
	v_add_co_u32_e32 v3, vcc, s4, v4
	s_ashr_i32 s5, s23, 31
	s_mov_b32 s4, s23
	s_lshl_b32 s38, s19, 4
	s_lshl_b64 s[8:9], s[4:5], 4
	s_add_u32 s4, s6, s20
	s_addc_u32 s5, s7, s21
	s_add_u32 s40, s4, 8
	s_addc_u32 s41, s5, 0
	;; [unrolled: 2-line block ×3, first 2 shown]
	s_add_i32 s2, s18, -1
	s_mul_i32 s16, s23, s2
	s_add_i32 s2, s35, 16
	v_addc_co_u32_e32 v5, vcc, 0, v2, vcc
	s_mul_i32 s2, s18, s2
	v_add_co_u32_e32 v2, vcc, 16, v3
	s_add_i32 s2, s2, 0
	v_addc_co_u32_e32 v3, vcc, 0, v5, vcc
	s_mov_b32 s39, s11
	s_mul_i32 s14, s23, s10
	v_mul_lo_u32 v12, v0, s23
	s_mul_i32 s44, s23, s19
	v_add3_u32 v13, s2, v4, -16
	s_xor_b32 s45, s35, -16
	s_branch .LBB62_8
.LBB62_7:                               ;   in Loop: Header=BB62_8 Depth=1
	s_or_b64 exec, exec, s[2:3]
	s_add_i32 s2, s10, -1
	s_add_u32 s42, s42, -16
	v_add_co_u32_e32 v2, vcc, -16, v2
	s_addc_u32 s43, s43, -1
	s_sub_i32 s14, s14, s23
	s_sub_i32 s16, s16, s23
	v_addc_co_u32_e32 v3, vcc, -1, v3, vcc
	v_add_u32_e32 v13, s45, v13
	s_cmp_lt_i32 s10, 1
	s_mov_b32 s10, s2
	s_waitcnt lgkmcnt(0)
	s_barrier
	s_cbranch_scc1 .LBB62_29
.LBB62_8:                               ; =>This Loop Header: Depth=1
                                        ;     Child Loop BB62_12 Depth 2
                                        ;       Child Loop BB62_14 Depth 3
                                        ;     Child Loop BB62_20 Depth 2
                                        ;       Child Loop BB62_22 Depth 3
	;; [unrolled: 2-line block ×3, first 2 shown]
	s_lshl_b32 s2, s10, 4
	s_not_b32 s46, s10
	s_add_i32 s47, s36, s2
	s_mul_i32 s2, s10, s18
	s_add_i32 s46, s46, s18
	s_lshl_b32 s2, s2, 4
	s_add_i32 s48, s10, s37
	s_add_i32 s47, s47, s2
	s_mov_b64 s[4:5], -1
	s_and_b64 vcc, exec, s[12:13]
	v_cmp_gt_i32_e64 s[2:3], s46, v0
	s_cbranch_vccz .LBB62_16
; %bb.9:                                ;   in Loop: Header=BB62_8 Depth=1
	s_and_saveexec_b64 s[20:21], s[2:3]
	s_cbranch_execz .LBB62_15
; %bb.10:                               ;   in Loop: Header=BB62_8 Depth=1
	s_cmp_gt_i32 s48, 0
	s_cselect_b64 s[2:3], -1, 0
	s_lshl_b64 s[4:5], s[10:11], 4
	s_add_u32 s4, s22, s4
	s_addc_u32 s5, s34, s5
	s_load_dwordx4 s[4:7], s[4:5], 0x0
	s_add_i32 s15, s47, 16
	s_mov_b64 s[24:25], 0
	v_pk_mov_b32 v[4:5], v[2:3], v[2:3] op_sel:[0,1]
	v_mov_b32_e32 v10, v0
	s_branch .LBB62_12
.LBB62_11:                              ;   in Loop: Header=BB62_12 Depth=2
	v_lshlrev_b32_e32 v11, 4, v10
	v_add_u32_e32 v14, s15, v11
	ds_read2_b64 v[14:17], v14 offset1:1
	s_waitcnt lgkmcnt(0)
	v_mul_f64 v[18:19], v[6:7], s[6:7]
	v_mul_f64 v[20:21], v[8:9], s[6:7]
	v_fma_f64 v[8:9], v[8:9], s[4:5], -v[18:19]
	v_fmac_f64_e32 v[20:21], s[4:5], v[6:7]
	v_add_u32_e32 v10, s19, v10
	v_add_f64 v[6:7], v[14:15], v[8:9]
	v_add_f64 v[8:9], v[20:21], v[16:17]
	v_add_u32_e32 v11, 0, v11
	v_cmp_le_i32_e32 vcc, s46, v10
	ds_write2_b64 v11, v[6:7], v[8:9] offset1:1
	v_mov_b32_e32 v6, s39
	s_or_b64 s[24:25], vcc, s[24:25]
	v_add_co_u32_e32 v4, vcc, s38, v4
	v_addc_co_u32_e32 v5, vcc, v5, v6, vcc
	s_andn2_b64 exec, exec, s[24:25]
	s_cbranch_execz .LBB62_15
.LBB62_12:                              ;   Parent Loop BB62_8 Depth=1
                                        ; =>  This Loop Header: Depth=2
                                        ;       Child Loop BB62_14 Depth 3
	v_pk_mov_b32 v[6:7], 0, 0
	s_andn2_b64 vcc, exec, s[2:3]
	v_pk_mov_b32 v[8:9], v[6:7], v[6:7] op_sel:[0,1]
	s_cbranch_vccnz .LBB62_11
; %bb.13:                               ;   in Loop: Header=BB62_12 Depth=2
	v_pk_mov_b32 v[6:7], 0, 0
	s_mov_b64 s[26:27], 0
	s_mov_b32 s17, 0
	v_pk_mov_b32 v[8:9], v[6:7], v[6:7] op_sel:[0,1]
.LBB62_14:                              ;   Parent Loop BB62_8 Depth=1
                                        ;     Parent Loop BB62_12 Depth=2
                                        ; =>    This Inner Loop Header: Depth=3
	v_mov_b32_e32 v11, s27
	v_add_co_u32_e32 v14, vcc, s26, v4
	v_addc_co_u32_e32 v15, vcc, v5, v11, vcc
	global_load_dwordx4 v[14:17], v[14:15], off
	s_add_u32 s28, s42, s26
	s_addc_u32 s29, s43, s27
	s_add_u32 s28, s28, -8
	s_addc_u32 s29, s29, -1
	s_load_dwordx4 s[52:55], s[28:29], 0x0
	s_add_i32 s17, s17, 1
	s_add_u32 s26, s26, s8
	s_addc_u32 s27, s27, s9
	s_cmp_ge_i32 s17, s48
	s_waitcnt vmcnt(0) lgkmcnt(0)
	v_mul_f64 v[18:19], s[54:55], v[16:17]
	v_mul_f64 v[20:21], s[54:55], v[14:15]
	v_fmac_f64_e32 v[18:19], s[52:53], v[14:15]
	v_fma_f64 v[14:15], s[52:53], v[16:17], -v[20:21]
	v_add_f64 v[8:9], v[8:9], v[18:19]
	v_add_f64 v[6:7], v[6:7], v[14:15]
	s_cbranch_scc0 .LBB62_14
	s_branch .LBB62_11
.LBB62_15:                              ;   in Loop: Header=BB62_8 Depth=1
	s_or_b64 exec, exec, s[20:21]
	s_mov_b64 s[4:5], 0
.LBB62_16:                              ;   in Loop: Header=BB62_8 Depth=1
	s_andn2_b64 vcc, exec, s[4:5]
	s_cbranch_vccnz .LBB62_24
; %bb.17:                               ;   in Loop: Header=BB62_8 Depth=1
	v_cmp_gt_i32_e32 vcc, s46, v0
	s_and_saveexec_b64 s[2:3], vcc
	s_cbranch_execz .LBB62_23
; %bb.18:                               ;   in Loop: Header=BB62_8 Depth=1
	s_ashr_i32 s15, s14, 31
	s_lshl_b64 s[4:5], s[14:15], 4
	s_add_u32 s20, s40, s4
	s_addc_u32 s21, s41, s5
	s_ashr_i32 s17, s16, 31
	s_lshl_b64 s[26:27], s[16:17], 4
	s_cmp_gt_i32 s48, 0
	s_cselect_b64 s[24:25], -1, 0
	s_lshl_b64 s[4:5], s[10:11], 4
	s_add_u32 s4, s22, s4
	s_addc_u32 s5, s34, s5
	s_load_dwordx4 s[4:7], s[4:5], 0x0
	s_add_i32 s15, s47, 16
	s_add_u32 s17, s40, s26
	s_addc_u32 s49, s41, s27
	s_mov_b64 s[26:27], 0
	v_mov_b32_e32 v4, v12
	v_mov_b32_e32 v14, v0
	s_branch .LBB62_20
.LBB62_19:                              ;   in Loop: Header=BB62_20 Depth=2
	v_lshlrev_b32_e32 v5, 4, v14
	v_add_u32_e32 v10, s15, v5
	ds_read2_b64 v[16:19], v10 offset1:1
	s_waitcnt lgkmcnt(0)
	v_mul_f64 v[10:11], v[6:7], s[6:7]
	v_mul_f64 v[20:21], v[8:9], s[6:7]
	v_add_u32_e32 v14, s19, v14
	v_fma_f64 v[8:9], v[8:9], s[4:5], -v[10:11]
	v_fmac_f64_e32 v[20:21], s[4:5], v[6:7]
	v_cmp_le_i32_e32 vcc, s46, v14
	v_add_f64 v[6:7], v[16:17], v[8:9]
	v_add_f64 v[8:9], v[20:21], v[18:19]
	v_add_u32_e32 v5, 0, v5
	s_or_b64 s[26:27], vcc, s[26:27]
	v_add_u32_e32 v4, s44, v4
	ds_write2_b64 v5, v[6:7], v[8:9] offset1:1
	s_andn2_b64 exec, exec, s[26:27]
	s_cbranch_execz .LBB62_23
.LBB62_20:                              ;   Parent Loop BB62_8 Depth=1
                                        ; =>  This Loop Header: Depth=2
                                        ;       Child Loop BB62_22 Depth 3
	v_pk_mov_b32 v[6:7], 0, 0
	s_andn2_b64 vcc, exec, s[24:25]
	v_pk_mov_b32 v[8:9], v[6:7], v[6:7] op_sel:[0,1]
	s_cbranch_vccnz .LBB62_19
; %bb.21:                               ;   in Loop: Header=BB62_20 Depth=2
	v_ashrrev_i32_e32 v5, 31, v4
	v_lshlrev_b64 v[6:7], 4, v[4:5]
	v_mov_b32_e32 v5, s49
	v_add_co_u32_e32 v10, vcc, s17, v6
	v_addc_co_u32_e32 v11, vcc, v5, v7, vcc
	v_pk_mov_b32 v[6:7], 0, 0
	s_mov_b32 s50, 0
	s_mov_b64 s[28:29], s[20:21]
	v_pk_mov_b32 v[8:9], v[6:7], v[6:7] op_sel:[0,1]
.LBB62_22:                              ;   Parent Loop BB62_8 Depth=1
                                        ;     Parent Loop BB62_20 Depth=2
                                        ; =>    This Inner Loop Header: Depth=3
	global_load_dwordx4 v[16:19], v[10:11], off offset:-8
	s_add_u32 s52, s28, -8
	s_addc_u32 s53, s29, -1
	s_load_dwordx4 s[52:55], s[52:53], 0x0
	s_add_i32 s50, s50, 1
	s_add_u32 s28, s28, 16
	v_add_co_u32_e32 v10, vcc, 16, v10
	s_addc_u32 s29, s29, 0
	v_addc_co_u32_e32 v11, vcc, 0, v11, vcc
	s_cmp_ge_i32 s50, s48
	s_waitcnt vmcnt(0) lgkmcnt(0)
	v_mul_f64 v[20:21], v[18:19], s[54:55]
	v_mul_f64 v[18:19], v[18:19], s[52:53]
	v_fmac_f64_e32 v[20:21], s[52:53], v[16:17]
	v_fma_f64 v[16:17], v[16:17], s[54:55], -v[18:19]
	v_add_f64 v[8:9], v[8:9], v[20:21]
	v_add_f64 v[6:7], v[6:7], v[16:17]
	s_cbranch_scc0 .LBB62_22
	s_branch .LBB62_19
.LBB62_23:                              ;   in Loop: Header=BB62_8 Depth=1
	s_or_b64 exec, exec, s[2:3]
.LBB62_24:                              ;   in Loop: Header=BB62_8 Depth=1
	v_cmp_gt_i32_e32 vcc, s46, v0
	s_waitcnt lgkmcnt(0)
	s_barrier
	s_and_saveexec_b64 s[2:3], vcc
	s_cbranch_execz .LBB62_7
; %bb.25:                               ;   in Loop: Header=BB62_8 Depth=1
	s_add_i32 s47, s47, 16
	s_mov_b64 s[4:5], 0
	v_mov_b32_e32 v8, v13
	v_mov_b32_e32 v9, v0
.LBB62_26:                              ;   Parent Loop BB62_8 Depth=1
                                        ; =>  This Loop Header: Depth=2
                                        ;       Child Loop BB62_27 Depth 3
	v_pk_mov_b32 v[4:5], 0, 0
	s_mov_b32 s15, -1
	s_mov_b32 s17, 0
	s_mov_b64 s[6:7], 0
	v_mov_b32_e32 v10, v8
	v_pk_mov_b32 v[6:7], v[4:5], v[4:5] op_sel:[0,1]
.LBB62_27:                              ;   Parent Loop BB62_8 Depth=1
                                        ;     Parent Loop BB62_26 Depth=2
                                        ; =>    This Inner Loop Header: Depth=3
	v_mov_b32_e32 v11, s17
	ds_read2_b64 v[14:17], v10 offset1:1
	ds_read2_b64 v[18:21], v11 offset1:1
	s_add_i32 s15, s15, 1
	s_add_i32 s17, s17, 16
	v_cmp_eq_u32_e32 vcc, s15, v9
	v_add_u32_e32 v10, s35, v10
	s_waitcnt lgkmcnt(0)
	v_mul_f64 v[22:23], v[20:21], v[16:17]
	v_mul_f64 v[16:17], v[18:19], v[16:17]
	v_fma_f64 v[18:19], v[18:19], v[14:15], -v[22:23]
	v_fmac_f64_e32 v[16:17], v[20:21], v[14:15]
	s_or_b64 s[6:7], vcc, s[6:7]
	v_add_f64 v[4:5], v[4:5], v[18:19]
	v_add_f64 v[6:7], v[6:7], v[16:17]
	s_andn2_b64 exec, exec, s[6:7]
	s_cbranch_execnz .LBB62_27
; %bb.28:                               ;   in Loop: Header=BB62_26 Depth=2
	s_or_b64 exec, exec, s[6:7]
	v_lshl_add_u32 v10, v9, 4, s47
	v_add_u32_e32 v9, s19, v9
	v_cmp_le_i32_e32 vcc, s46, v9
	s_or_b64 s[4:5], vcc, s[4:5]
	v_add_u32_e32 v8, s38, v8
	ds_write2_b64 v10, v[4:5], v[6:7] offset1:1
	s_andn2_b64 exec, exec, s[4:5]
	s_cbranch_execnz .LBB62_26
	s_branch .LBB62_7
.LBB62_29:
	s_and_saveexec_b64 s[2:3], s[0:1]
	s_cbranch_execz .LBB62_34
; %bb.30:
	s_lshl_b32 s6, s18, 4
	s_add_i32 s0, s6, 0
	v_lshl_add_u32 v4, v0, 4, s0
	s_lshl_b32 s7, s19, 4
	s_mov_b64 s[2:3], 0
	v_mov_b32_e32 v5, s33
.LBB62_31:                              ; =>This Loop Header: Depth=1
                                        ;     Child Loop BB62_32 Depth 2
	s_mov_b64 s[4:5], 0
	v_mov_b32_e32 v6, v4
	v_mov_b32_e32 v2, v0
	s_mov_b32 s8, 0
.LBB62_32:                              ;   Parent Loop BB62_31 Depth=1
                                        ; =>  This Inner Loop Header: Depth=2
	ds_read2_b64 v[8:11], v6 offset1:1
	v_ashrrev_i32_e32 v3, 31, v2
	s_add_i32 s8, s8, 1
	v_lshlrev_b64 v[12:13], 4, v[2:3]
	v_cmp_eq_u32_e32 vcc, s8, v1
	v_add_co_u32_e64 v12, s[0:1], s31, v12
	v_add_u32_e32 v6, s6, v6
	v_add_u32_e32 v2, s30, v2
	v_addc_co_u32_e64 v13, s[0:1], v5, v13, s[0:1]
	s_or_b64 s[4:5], vcc, s[4:5]
	s_waitcnt lgkmcnt(0)
	global_store_dwordx4 v[12:13], v[8:11], off
	s_andn2_b64 exec, exec, s[4:5]
	s_cbranch_execnz .LBB62_32
; %bb.33:                               ;   in Loop: Header=BB62_31 Depth=1
	s_or_b64 exec, exec, s[4:5]
	v_add_u32_e32 v0, s19, v0
	v_cmp_le_i32_e32 vcc, s18, v0
	v_add_u32_e32 v1, s19, v1
	s_or_b64 s[2:3], vcc, s[2:3]
	v_add_u32_e32 v4, s7, v4
	s_andn2_b64 exec, exec, s[2:3]
	s_cbranch_execnz .LBB62_31
.LBB62_34:
	s_endpgm
	.section	.rodata,"a",@progbits
	.p2align	6, 0x0
	.amdhsa_kernel _ZN9rocsolver6v33100L21larft_kernel_backwardI19rocblas_complex_numIdEPS3_EEv15rocblas_storev_iiT0_iilPT_lS8_il
		.amdhsa_group_segment_fixed_size 0
		.amdhsa_private_segment_fixed_size 0
		.amdhsa_kernarg_size 336
		.amdhsa_user_sgpr_count 6
		.amdhsa_user_sgpr_private_segment_buffer 1
		.amdhsa_user_sgpr_dispatch_ptr 0
		.amdhsa_user_sgpr_queue_ptr 0
		.amdhsa_user_sgpr_kernarg_segment_ptr 1
		.amdhsa_user_sgpr_dispatch_id 0
		.amdhsa_user_sgpr_flat_scratch_init 0
		.amdhsa_user_sgpr_kernarg_preload_length 0
		.amdhsa_user_sgpr_kernarg_preload_offset 0
		.amdhsa_user_sgpr_private_segment_size 0
		.amdhsa_uses_dynamic_stack 0
		.amdhsa_system_sgpr_private_segment_wavefront_offset 0
		.amdhsa_system_sgpr_workgroup_id_x 1
		.amdhsa_system_sgpr_workgroup_id_y 1
		.amdhsa_system_sgpr_workgroup_id_z 0
		.amdhsa_system_sgpr_workgroup_info 0
		.amdhsa_system_vgpr_workitem_id 0
		.amdhsa_next_free_vgpr 24
		.amdhsa_next_free_sgpr 56
		.amdhsa_accum_offset 24
		.amdhsa_reserve_vcc 1
		.amdhsa_reserve_flat_scratch 0
		.amdhsa_float_round_mode_32 0
		.amdhsa_float_round_mode_16_64 0
		.amdhsa_float_denorm_mode_32 3
		.amdhsa_float_denorm_mode_16_64 3
		.amdhsa_dx10_clamp 1
		.amdhsa_ieee_mode 1
		.amdhsa_fp16_overflow 0
		.amdhsa_tg_split 0
		.amdhsa_exception_fp_ieee_invalid_op 0
		.amdhsa_exception_fp_denorm_src 0
		.amdhsa_exception_fp_ieee_div_zero 0
		.amdhsa_exception_fp_ieee_overflow 0
		.amdhsa_exception_fp_ieee_underflow 0
		.amdhsa_exception_fp_ieee_inexact 0
		.amdhsa_exception_int_div_zero 0
	.end_amdhsa_kernel
	.section	.text._ZN9rocsolver6v33100L21larft_kernel_backwardI19rocblas_complex_numIdEPS3_EEv15rocblas_storev_iiT0_iilPT_lS8_il,"axG",@progbits,_ZN9rocsolver6v33100L21larft_kernel_backwardI19rocblas_complex_numIdEPS3_EEv15rocblas_storev_iiT0_iilPT_lS8_il,comdat
.Lfunc_end62:
	.size	_ZN9rocsolver6v33100L21larft_kernel_backwardI19rocblas_complex_numIdEPS3_EEv15rocblas_storev_iiT0_iilPT_lS8_il, .Lfunc_end62-_ZN9rocsolver6v33100L21larft_kernel_backwardI19rocblas_complex_numIdEPS3_EEv15rocblas_storev_iiT0_iilPT_lS8_il
                                        ; -- End function
	.section	.AMDGPU.csdata,"",@progbits
; Kernel info:
; codeLenInByte = 1752
; NumSgprs: 60
; NumVgprs: 24
; NumAgprs: 0
; TotalNumVgprs: 24
; ScratchSize: 0
; MemoryBound: 0
; FloatMode: 240
; IeeeMode: 1
; LDSByteSize: 0 bytes/workgroup (compile time only)
; SGPRBlocks: 7
; VGPRBlocks: 2
; NumSGPRsForWavesPerEU: 60
; NumVGPRsForWavesPerEU: 24
; AccumOffset: 24
; Occupancy: 8
; WaveLimiterHint : 0
; COMPUTE_PGM_RSRC2:SCRATCH_EN: 0
; COMPUTE_PGM_RSRC2:USER_SGPR: 6
; COMPUTE_PGM_RSRC2:TRAP_HANDLER: 0
; COMPUTE_PGM_RSRC2:TGID_X_EN: 1
; COMPUTE_PGM_RSRC2:TGID_Y_EN: 1
; COMPUTE_PGM_RSRC2:TGID_Z_EN: 0
; COMPUTE_PGM_RSRC2:TIDIG_COMP_CNT: 0
; COMPUTE_PGM_RSRC3_GFX90A:ACCUM_OFFSET: 5
; COMPUTE_PGM_RSRC3_GFX90A:TG_SPLIT: 0
	.section	.text._ZN9rocsolver6v33100L9copymatA1I19rocblas_complex_numIdEPS3_EEviiT0_iilPT_,"axG",@progbits,_ZN9rocsolver6v33100L9copymatA1I19rocblas_complex_numIdEPS3_EEviiT0_iilPT_,comdat
	.globl	_ZN9rocsolver6v33100L9copymatA1I19rocblas_complex_numIdEPS3_EEviiT0_iilPT_ ; -- Begin function _ZN9rocsolver6v33100L9copymatA1I19rocblas_complex_numIdEPS3_EEviiT0_iilPT_
	.p2align	8
	.type	_ZN9rocsolver6v33100L9copymatA1I19rocblas_complex_numIdEPS3_EEviiT0_iilPT_,@function
_ZN9rocsolver6v33100L9copymatA1I19rocblas_complex_numIdEPS3_EEviiT0_iilPT_: ; @_ZN9rocsolver6v33100L9copymatA1I19rocblas_complex_numIdEPS3_EEviiT0_iilPT_
; %bb.0:
	s_load_dword s0, s[4:5], 0x34
	s_load_dwordx2 s[2:3], s[4:5], 0x0
	v_and_b32_e32 v1, 0x3ff, v0
	v_bfe_u32 v0, v0, 10, 10
	s_waitcnt lgkmcnt(0)
	s_lshr_b32 s1, s0, 16
	s_and_b32 s0, s0, 0xffff
	s_mul_i32 s6, s6, s0
	s_mul_i32 s7, s7, s1
	v_add_u32_e32 v1, s6, v1
	v_add_u32_e32 v0, s7, v0
	v_cmp_gt_u32_e32 vcc, s2, v0
	v_cmp_gt_u32_e64 s[0:1], s3, v1
	s_and_b64 s[0:1], s[0:1], vcc
	s_and_saveexec_b64 s[6:7], s[0:1]
	s_cbranch_execz .LBB63_2
; %bb.1:
	s_ashr_i32 s0, s2, 31
	s_load_dwordx8 s[12:19], s[4:5], 0x8
	s_mul_hi_u32 s4, s2, s8
	s_mul_i32 s0, s0, s8
	s_ashr_i32 s1, s3, 31
	s_add_i32 s0, s4, s0
	s_mul_i32 s4, s2, s8
	s_mul_i32 s1, s4, s1
	s_mul_hi_u32 s5, s4, s3
	s_add_i32 s1, s5, s1
	s_mul_i32 s0, s0, s3
	s_add_i32 s1, s1, s0
	s_mul_i32 s0, s4, s3
	s_lshl_b64 s[0:1], s[0:1], 4
	s_waitcnt lgkmcnt(0)
	s_add_u32 s3, s18, s0
	s_mul_i32 s4, s8, s17
	s_mul_hi_u32 s5, s8, s16
	s_addc_u32 s6, s19, s1
	s_add_i32 s5, s5, s4
	s_mul_i32 s4, s8, s16
	s_ashr_i32 s1, s14, 31
	s_lshl_b64 s[4:5], s[4:5], 4
	s_mov_b32 s0, s14
	s_add_u32 s4, s12, s4
	s_addc_u32 s5, s13, s5
	s_lshl_b64 s[0:1], s[0:1], 4
	s_add_u32 s4, s4, s0
	s_addc_u32 s5, s5, s1
	v_mad_u64_u32 v[6:7], s[0:1], v1, s15, v[0:1]
	v_mov_b32_e32 v7, 0
	v_lshlrev_b64 v[2:3], 4, v[6:7]
	v_mov_b32_e32 v4, s5
	v_add_co_u32_e32 v2, vcc, s4, v2
	v_addc_co_u32_e32 v3, vcc, v4, v3, vcc
	global_load_dwordx4 v[2:5], v[2:3], off
	v_mad_u64_u32 v[0:1], s[0:1], v1, s2, v[0:1]
	v_mov_b32_e32 v1, v7
	v_lshlrev_b64 v[0:1], 4, v[0:1]
	v_mov_b32_e32 v6, s6
	v_add_co_u32_e32 v0, vcc, s3, v0
	v_addc_co_u32_e32 v1, vcc, v6, v1, vcc
	s_waitcnt vmcnt(0)
	global_store_dwordx4 v[0:1], v[2:5], off
.LBB63_2:
	s_endpgm
	.section	.rodata,"a",@progbits
	.p2align	6, 0x0
	.amdhsa_kernel _ZN9rocsolver6v33100L9copymatA1I19rocblas_complex_numIdEPS3_EEviiT0_iilPT_
		.amdhsa_group_segment_fixed_size 0
		.amdhsa_private_segment_fixed_size 0
		.amdhsa_kernarg_size 296
		.amdhsa_user_sgpr_count 6
		.amdhsa_user_sgpr_private_segment_buffer 1
		.amdhsa_user_sgpr_dispatch_ptr 0
		.amdhsa_user_sgpr_queue_ptr 0
		.amdhsa_user_sgpr_kernarg_segment_ptr 1
		.amdhsa_user_sgpr_dispatch_id 0
		.amdhsa_user_sgpr_flat_scratch_init 0
		.amdhsa_user_sgpr_kernarg_preload_length 0
		.amdhsa_user_sgpr_kernarg_preload_offset 0
		.amdhsa_user_sgpr_private_segment_size 0
		.amdhsa_uses_dynamic_stack 0
		.amdhsa_system_sgpr_private_segment_wavefront_offset 0
		.amdhsa_system_sgpr_workgroup_id_x 1
		.amdhsa_system_sgpr_workgroup_id_y 1
		.amdhsa_system_sgpr_workgroup_id_z 1
		.amdhsa_system_sgpr_workgroup_info 0
		.amdhsa_system_vgpr_workitem_id 1
		.amdhsa_next_free_vgpr 8
		.amdhsa_next_free_sgpr 20
		.amdhsa_accum_offset 8
		.amdhsa_reserve_vcc 1
		.amdhsa_reserve_flat_scratch 0
		.amdhsa_float_round_mode_32 0
		.amdhsa_float_round_mode_16_64 0
		.amdhsa_float_denorm_mode_32 3
		.amdhsa_float_denorm_mode_16_64 3
		.amdhsa_dx10_clamp 1
		.amdhsa_ieee_mode 1
		.amdhsa_fp16_overflow 0
		.amdhsa_tg_split 0
		.amdhsa_exception_fp_ieee_invalid_op 0
		.amdhsa_exception_fp_denorm_src 0
		.amdhsa_exception_fp_ieee_div_zero 0
		.amdhsa_exception_fp_ieee_overflow 0
		.amdhsa_exception_fp_ieee_underflow 0
		.amdhsa_exception_fp_ieee_inexact 0
		.amdhsa_exception_int_div_zero 0
	.end_amdhsa_kernel
	.section	.text._ZN9rocsolver6v33100L9copymatA1I19rocblas_complex_numIdEPS3_EEviiT0_iilPT_,"axG",@progbits,_ZN9rocsolver6v33100L9copymatA1I19rocblas_complex_numIdEPS3_EEviiT0_iilPT_,comdat
.Lfunc_end63:
	.size	_ZN9rocsolver6v33100L9copymatA1I19rocblas_complex_numIdEPS3_EEviiT0_iilPT_, .Lfunc_end63-_ZN9rocsolver6v33100L9copymatA1I19rocblas_complex_numIdEPS3_EEviiT0_iilPT_
                                        ; -- End function
	.section	.AMDGPU.csdata,"",@progbits
; Kernel info:
; codeLenInByte = 296
; NumSgprs: 24
; NumVgprs: 8
; NumAgprs: 0
; TotalNumVgprs: 8
; ScratchSize: 0
; MemoryBound: 0
; FloatMode: 240
; IeeeMode: 1
; LDSByteSize: 0 bytes/workgroup (compile time only)
; SGPRBlocks: 2
; VGPRBlocks: 0
; NumSGPRsForWavesPerEU: 24
; NumVGPRsForWavesPerEU: 8
; AccumOffset: 8
; Occupancy: 8
; WaveLimiterHint : 0
; COMPUTE_PGM_RSRC2:SCRATCH_EN: 0
; COMPUTE_PGM_RSRC2:USER_SGPR: 6
; COMPUTE_PGM_RSRC2:TRAP_HANDLER: 0
; COMPUTE_PGM_RSRC2:TGID_X_EN: 1
; COMPUTE_PGM_RSRC2:TGID_Y_EN: 1
; COMPUTE_PGM_RSRC2:TGID_Z_EN: 1
; COMPUTE_PGM_RSRC2:TIDIG_COMP_CNT: 1
; COMPUTE_PGM_RSRC3_GFX90A:ACCUM_OFFSET: 1
; COMPUTE_PGM_RSRC3_GFX90A:TG_SPLIT: 0
	.section	.text._ZN9rocsolver6v33100L8addmatA1I19rocblas_complex_numIdEPS3_EEviiT0_iilPT_,"axG",@progbits,_ZN9rocsolver6v33100L8addmatA1I19rocblas_complex_numIdEPS3_EEviiT0_iilPT_,comdat
	.globl	_ZN9rocsolver6v33100L8addmatA1I19rocblas_complex_numIdEPS3_EEviiT0_iilPT_ ; -- Begin function _ZN9rocsolver6v33100L8addmatA1I19rocblas_complex_numIdEPS3_EEviiT0_iilPT_
	.p2align	8
	.type	_ZN9rocsolver6v33100L8addmatA1I19rocblas_complex_numIdEPS3_EEviiT0_iilPT_,@function
_ZN9rocsolver6v33100L8addmatA1I19rocblas_complex_numIdEPS3_EEviiT0_iilPT_: ; @_ZN9rocsolver6v33100L8addmatA1I19rocblas_complex_numIdEPS3_EEviiT0_iilPT_
; %bb.0:
	s_load_dword s0, s[4:5], 0x34
	s_load_dwordx2 s[10:11], s[4:5], 0x0
	v_and_b32_e32 v1, 0x3ff, v0
	v_bfe_u32 v0, v0, 10, 10
	s_waitcnt lgkmcnt(0)
	s_lshr_b32 s1, s0, 16
	s_and_b32 s0, s0, 0xffff
	s_mul_i32 s6, s6, s0
	s_mul_i32 s7, s7, s1
	v_add_u32_e32 v1, s6, v1
	v_add_u32_e32 v0, s7, v0
	v_cmp_gt_u32_e32 vcc, s10, v0
	v_cmp_gt_u32_e64 s[0:1], s11, v1
	s_and_b64 s[0:1], s[0:1], vcc
	s_and_saveexec_b64 s[2:3], s[0:1]
	s_cbranch_execz .LBB64_2
; %bb.1:
	s_ashr_i32 s9, s10, 31
	s_load_dwordx8 s[0:7], s[4:5], 0x8
	s_ashr_i32 s12, s11, 31
	s_mul_hi_u32 s13, s10, s8
	s_mul_i32 s9, s9, s8
	s_mul_i32 s14, s10, s8
	s_add_i32 s9, s13, s9
	s_mul_i32 s12, s14, s12
	s_mul_hi_u32 s13, s14, s11
	s_add_i32 s12, s13, s12
	s_mul_i32 s9, s9, s11
	s_add_i32 s13, s12, s9
	s_mul_i32 s12, s14, s11
	s_lshl_b64 s[12:13], s[12:13], 4
	s_waitcnt lgkmcnt(0)
	s_add_u32 s9, s6, s12
	s_addc_u32 s11, s7, s13
	s_ashr_i32 s7, s2, 31
	s_mov_b32 s6, s2
	s_mul_i32 s2, s8, s5
	s_mul_hi_u32 s5, s8, s4
	s_add_i32 s5, s5, s2
	s_mul_i32 s4, s8, s4
	s_lshl_b64 s[4:5], s[4:5], 4
	s_add_u32 s2, s0, s4
	s_addc_u32 s4, s1, s5
	s_lshl_b64 s[0:1], s[6:7], 4
	s_add_u32 s2, s2, s0
	s_addc_u32 s4, s4, s1
	v_mad_u64_u32 v[2:3], s[0:1], v1, s10, v[0:1]
	v_mov_b32_e32 v3, 0
	v_lshlrev_b64 v[4:5], 4, v[2:3]
	v_mad_u64_u32 v[0:1], s[0:1], v1, s3, v[0:1]
	v_mov_b32_e32 v2, s11
	v_add_co_u32_e32 v8, vcc, s9, v4
	v_mov_b32_e32 v1, v3
	v_addc_co_u32_e32 v9, vcc, v2, v5, vcc
	v_lshlrev_b64 v[0:1], 4, v[0:1]
	v_mov_b32_e32 v2, s4
	v_add_co_u32_e32 v10, vcc, s2, v0
	v_addc_co_u32_e32 v11, vcc, v2, v1, vcc
	global_load_dwordx4 v[0:3], v[8:9], off
	global_load_dwordx4 v[4:7], v[10:11], off
	s_waitcnt vmcnt(0)
	v_add_f64 v[0:1], v[4:5], -v[0:1]
	v_add_f64 v[2:3], v[6:7], -v[2:3]
	global_store_dwordx4 v[10:11], v[0:3], off
.LBB64_2:
	s_endpgm
	.section	.rodata,"a",@progbits
	.p2align	6, 0x0
	.amdhsa_kernel _ZN9rocsolver6v33100L8addmatA1I19rocblas_complex_numIdEPS3_EEviiT0_iilPT_
		.amdhsa_group_segment_fixed_size 0
		.amdhsa_private_segment_fixed_size 0
		.amdhsa_kernarg_size 296
		.amdhsa_user_sgpr_count 6
		.amdhsa_user_sgpr_private_segment_buffer 1
		.amdhsa_user_sgpr_dispatch_ptr 0
		.amdhsa_user_sgpr_queue_ptr 0
		.amdhsa_user_sgpr_kernarg_segment_ptr 1
		.amdhsa_user_sgpr_dispatch_id 0
		.amdhsa_user_sgpr_flat_scratch_init 0
		.amdhsa_user_sgpr_kernarg_preload_length 0
		.amdhsa_user_sgpr_kernarg_preload_offset 0
		.amdhsa_user_sgpr_private_segment_size 0
		.amdhsa_uses_dynamic_stack 0
		.amdhsa_system_sgpr_private_segment_wavefront_offset 0
		.amdhsa_system_sgpr_workgroup_id_x 1
		.amdhsa_system_sgpr_workgroup_id_y 1
		.amdhsa_system_sgpr_workgroup_id_z 1
		.amdhsa_system_sgpr_workgroup_info 0
		.amdhsa_system_vgpr_workitem_id 1
		.amdhsa_next_free_vgpr 12
		.amdhsa_next_free_sgpr 15
		.amdhsa_accum_offset 12
		.amdhsa_reserve_vcc 1
		.amdhsa_reserve_flat_scratch 0
		.amdhsa_float_round_mode_32 0
		.amdhsa_float_round_mode_16_64 0
		.amdhsa_float_denorm_mode_32 3
		.amdhsa_float_denorm_mode_16_64 3
		.amdhsa_dx10_clamp 1
		.amdhsa_ieee_mode 1
		.amdhsa_fp16_overflow 0
		.amdhsa_tg_split 0
		.amdhsa_exception_fp_ieee_invalid_op 0
		.amdhsa_exception_fp_denorm_src 0
		.amdhsa_exception_fp_ieee_div_zero 0
		.amdhsa_exception_fp_ieee_overflow 0
		.amdhsa_exception_fp_ieee_underflow 0
		.amdhsa_exception_fp_ieee_inexact 0
		.amdhsa_exception_int_div_zero 0
	.end_amdhsa_kernel
	.section	.text._ZN9rocsolver6v33100L8addmatA1I19rocblas_complex_numIdEPS3_EEviiT0_iilPT_,"axG",@progbits,_ZN9rocsolver6v33100L8addmatA1I19rocblas_complex_numIdEPS3_EEviiT0_iilPT_,comdat
.Lfunc_end64:
	.size	_ZN9rocsolver6v33100L8addmatA1I19rocblas_complex_numIdEPS3_EEviiT0_iilPT_, .Lfunc_end64-_ZN9rocsolver6v33100L8addmatA1I19rocblas_complex_numIdEPS3_EEviiT0_iilPT_
                                        ; -- End function
	.section	.AMDGPU.csdata,"",@progbits
; Kernel info:
; codeLenInByte = 320
; NumSgprs: 19
; NumVgprs: 12
; NumAgprs: 0
; TotalNumVgprs: 12
; ScratchSize: 0
; MemoryBound: 0
; FloatMode: 240
; IeeeMode: 1
; LDSByteSize: 0 bytes/workgroup (compile time only)
; SGPRBlocks: 2
; VGPRBlocks: 1
; NumSGPRsForWavesPerEU: 19
; NumVGPRsForWavesPerEU: 12
; AccumOffset: 12
; Occupancy: 8
; WaveLimiterHint : 0
; COMPUTE_PGM_RSRC2:SCRATCH_EN: 0
; COMPUTE_PGM_RSRC2:USER_SGPR: 6
; COMPUTE_PGM_RSRC2:TRAP_HANDLER: 0
; COMPUTE_PGM_RSRC2:TGID_X_EN: 1
; COMPUTE_PGM_RSRC2:TGID_Y_EN: 1
; COMPUTE_PGM_RSRC2:TGID_Z_EN: 1
; COMPUTE_PGM_RSRC2:TIDIG_COMP_CNT: 1
; COMPUTE_PGM_RSRC3_GFX90A:ACCUM_OFFSET: 2
; COMPUTE_PGM_RSRC3_GFX90A:TG_SPLIT: 0
	.section	.text._ZN9rocsolver6v33100L15copyshift_rightI19rocblas_complex_numIdEPS3_EEvbiT0_iilPT_iil,"axG",@progbits,_ZN9rocsolver6v33100L15copyshift_rightI19rocblas_complex_numIdEPS3_EEvbiT0_iilPT_iil,comdat
	.globl	_ZN9rocsolver6v33100L15copyshift_rightI19rocblas_complex_numIdEPS3_EEvbiT0_iilPT_iil ; -- Begin function _ZN9rocsolver6v33100L15copyshift_rightI19rocblas_complex_numIdEPS3_EEvbiT0_iilPT_iil
	.p2align	8
	.type	_ZN9rocsolver6v33100L15copyshift_rightI19rocblas_complex_numIdEPS3_EEvbiT0_iilPT_iil,@function
_ZN9rocsolver6v33100L15copyshift_rightI19rocblas_complex_numIdEPS3_EEvbiT0_iilPT_iil: ; @_ZN9rocsolver6v33100L15copyshift_rightI19rocblas_complex_numIdEPS3_EEvbiT0_iilPT_iil
; %bb.0:
	s_load_dwordx4 s[0:3], s[4:5], 0x0
	s_load_dwordx4 s[12:15], s[4:5], 0x18
	s_load_dword s9, s[4:5], 0x44
	s_load_dwordx2 s[10:11], s[4:5], 0x10
	v_and_b32_e32 v1, 0x3ff, v0
	s_waitcnt lgkmcnt(0)
	s_bitcmp1_b32 s0, 0
	s_cselect_b64 s[16:17], -1, 0
	s_and_b32 s0, s9, 0xffff
	s_lshr_b32 s9, s9, 16
	s_mul_i32 s7, s7, s9
	s_mul_i32 s6, s6, s0
	;; [unrolled: 1-line block ×3, first 2 shown]
	s_mul_hi_u32 s9, s8, s12
	v_bfe_u32 v0, v0, 10, 10
	s_add_i32 s13, s9, s0
	s_mul_i32 s12, s8, s12
	s_xor_b64 s[16:17], s[16:17], -1
	v_add_u32_e32 v6, s7, v0
	s_ashr_i32 s7, s10, 31
	s_lshl_b64 s[12:13], s[12:13], 4
	v_add_u32_e32 v4, s6, v1
	s_mov_b32 s6, s10
	s_add_u32 s0, s2, s12
	s_addc_u32 s9, s3, s13
	s_lshl_b64 s[2:3], s[6:7], 4
	v_or_b32_e32 v0, v4, v6
	s_add_u32 s6, s0, s2
	v_cmp_eq_u32_e32 vcc, 0, v0
	s_addc_u32 s7, s9, s3
	s_and_b64 s[12:13], vcc, s[16:17]
	s_and_saveexec_b64 s[2:3], s[12:13]
	s_cbranch_execz .LBB65_2
; %bb.1:
	v_mov_b32_e32 v0, 0
	v_mov_b32_e32 v1, 0x3ff00000
	;; [unrolled: 1-line block ×4, first 2 shown]
	global_store_dwordx4 v0, v[0:3], s[6:7]
.LBB65_2:
	s_or_b64 exec, exec, s[2:3]
	v_max_u32_e32 v0, v6, v4
	v_cmp_gt_u32_e32 vcc, s1, v0
	v_cmp_le_u32_e64 s[0:1], v6, v4
	s_and_b64 s[0:1], s[0:1], vcc
	s_and_saveexec_b64 s[2:3], s[0:1]
	s_cbranch_execz .LBB65_11
; %bb.3:
	s_load_dwordx4 s[0:3], s[4:5], 0x28
	s_waitcnt lgkmcnt(0)
	s_ashr_i32 s5, s0, 31
	s_mov_b32 s4, s0
	s_mul_i32 s0, s8, s3
	s_mul_hi_u32 s3, s8, s2
	s_mul_i32 s2, s8, s2
	s_add_i32 s3, s3, s0
	s_lshl_b64 s[2:3], s[2:3], 4
	s_add_u32 s0, s14, s2
	s_addc_u32 s8, s15, s3
	s_lshl_b64 s[2:3], s[4:5], 4
	s_add_u32 s0, s0, s2
	s_addc_u32 s4, s8, s3
	v_mad_u64_u32 v[0:1], s[2:3], v6, v6, v[6:7]
	v_lshrrev_b32_e32 v5, 1, v0
	s_mov_b64 s[2:3], -1
	s_and_b64 vcc, exec, s[16:17]
	s_cbranch_vccz .LBB65_7
; %bb.4:
	v_mad_u64_u32 v[0:1], s[2:3], v6, s1, v[4:5]
	v_sub_u32_e32 v0, v0, v5
	v_mov_b32_e32 v1, 0
	v_lshlrev_b64 v[2:3], 4, v[0:1]
	v_mov_b32_e32 v0, s4
	v_add_co_u32_e32 v2, vcc, s0, v2
	v_addc_co_u32_e32 v3, vcc, v0, v3, vcc
	global_load_dwordx4 v[8:11], v[2:3], off
	v_mul_lo_u32 v2, v6, s11
	v_add3_u32 v0, v4, v2, 1
	v_lshlrev_b64 v[12:13], 4, v[0:1]
	v_mov_b32_e32 v3, s7
	v_add_co_u32_e32 v12, vcc, s6, v12
	v_addc_co_u32_e32 v13, vcc, v3, v13, vcc
	v_cmp_eq_u32_e32 vcc, v4, v6
	s_waitcnt vmcnt(0)
	global_store_dwordx4 v[12:13], v[8:11], off
	s_and_saveexec_b64 s[2:3], vcc
	s_cbranch_execz .LBB65_6
; %bb.5:
	v_add_u32_e32 v0, s11, v2
	v_lshlrev_b64 v[2:3], 4, v[0:1]
	v_mov_b32_e32 v0, s7
	v_add_co_u32_e32 v8, vcc, s6, v2
	v_addc_co_u32_e32 v9, vcc, v0, v3, vcc
	v_mov_b32_e32 v0, v1
	v_mov_b32_e32 v2, v1
	;; [unrolled: 1-line block ×3, first 2 shown]
	global_store_dwordx4 v[8:9], v[0:3], off
.LBB65_6:
	s_or_b64 exec, exec, s[2:3]
	s_mov_b64 s[2:3], 0
.LBB65_7:
	s_andn2_b64 vcc, exec, s[2:3]
	s_cbranch_vccnz .LBB65_11
; %bb.8:
	v_pk_mov_b32 v[0:1], 0, 0
	v_cmp_ne_u32_e32 vcc, 0, v6
	v_pk_mov_b32 v[2:3], v[0:1], v[0:1] op_sel:[0,1]
	s_and_saveexec_b64 s[2:3], vcc
	s_cbranch_execz .LBB65_10
; %bb.9:
	v_add_u32_e32 v0, -1, v6
	v_mul_lo_u32 v0, v0, s11
	v_add3_u32 v0, v4, v0, 1
	v_mov_b32_e32 v1, 0
	v_lshlrev_b64 v[0:1], 4, v[0:1]
	v_mov_b32_e32 v2, s7
	v_add_co_u32_e32 v0, vcc, s6, v0
	v_addc_co_u32_e32 v1, vcc, v2, v1, vcc
	global_load_dwordx4 v[0:3], v[0:1], off
.LBB65_10:
	s_or_b64 exec, exec, s[2:3]
	v_mad_u64_u32 v[6:7], s[2:3], v6, s1, v[4:5]
	v_sub_u32_e32 v4, v6, v5
	v_mov_b32_e32 v5, 0
	v_lshlrev_b64 v[4:5], 4, v[4:5]
	v_mov_b32_e32 v6, s4
	v_add_co_u32_e32 v4, vcc, s0, v4
	v_addc_co_u32_e32 v5, vcc, v6, v5, vcc
	s_waitcnt vmcnt(0)
	global_store_dwordx4 v[4:5], v[0:3], off
.LBB65_11:
	s_endpgm
	.section	.rodata,"a",@progbits
	.p2align	6, 0x0
	.amdhsa_kernel _ZN9rocsolver6v33100L15copyshift_rightI19rocblas_complex_numIdEPS3_EEvbiT0_iilPT_iil
		.amdhsa_group_segment_fixed_size 0
		.amdhsa_private_segment_fixed_size 0
		.amdhsa_kernarg_size 312
		.amdhsa_user_sgpr_count 6
		.amdhsa_user_sgpr_private_segment_buffer 1
		.amdhsa_user_sgpr_dispatch_ptr 0
		.amdhsa_user_sgpr_queue_ptr 0
		.amdhsa_user_sgpr_kernarg_segment_ptr 1
		.amdhsa_user_sgpr_dispatch_id 0
		.amdhsa_user_sgpr_flat_scratch_init 0
		.amdhsa_user_sgpr_kernarg_preload_length 0
		.amdhsa_user_sgpr_kernarg_preload_offset 0
		.amdhsa_user_sgpr_private_segment_size 0
		.amdhsa_uses_dynamic_stack 0
		.amdhsa_system_sgpr_private_segment_wavefront_offset 0
		.amdhsa_system_sgpr_workgroup_id_x 1
		.amdhsa_system_sgpr_workgroup_id_y 1
		.amdhsa_system_sgpr_workgroup_id_z 1
		.amdhsa_system_sgpr_workgroup_info 0
		.amdhsa_system_vgpr_workitem_id 1
		.amdhsa_next_free_vgpr 14
		.amdhsa_next_free_sgpr 18
		.amdhsa_accum_offset 16
		.amdhsa_reserve_vcc 1
		.amdhsa_reserve_flat_scratch 0
		.amdhsa_float_round_mode_32 0
		.amdhsa_float_round_mode_16_64 0
		.amdhsa_float_denorm_mode_32 3
		.amdhsa_float_denorm_mode_16_64 3
		.amdhsa_dx10_clamp 1
		.amdhsa_ieee_mode 1
		.amdhsa_fp16_overflow 0
		.amdhsa_tg_split 0
		.amdhsa_exception_fp_ieee_invalid_op 0
		.amdhsa_exception_fp_denorm_src 0
		.amdhsa_exception_fp_ieee_div_zero 0
		.amdhsa_exception_fp_ieee_overflow 0
		.amdhsa_exception_fp_ieee_underflow 0
		.amdhsa_exception_fp_ieee_inexact 0
		.amdhsa_exception_int_div_zero 0
	.end_amdhsa_kernel
	.section	.text._ZN9rocsolver6v33100L15copyshift_rightI19rocblas_complex_numIdEPS3_EEvbiT0_iilPT_iil,"axG",@progbits,_ZN9rocsolver6v33100L15copyshift_rightI19rocblas_complex_numIdEPS3_EEvbiT0_iilPT_iil,comdat
.Lfunc_end65:
	.size	_ZN9rocsolver6v33100L15copyshift_rightI19rocblas_complex_numIdEPS3_EEvbiT0_iilPT_iil, .Lfunc_end65-_ZN9rocsolver6v33100L15copyshift_rightI19rocblas_complex_numIdEPS3_EEvbiT0_iilPT_iil
                                        ; -- End function
	.section	.AMDGPU.csdata,"",@progbits
; Kernel info:
; codeLenInByte = 604
; NumSgprs: 22
; NumVgprs: 14
; NumAgprs: 0
; TotalNumVgprs: 14
; ScratchSize: 0
; MemoryBound: 0
; FloatMode: 240
; IeeeMode: 1
; LDSByteSize: 0 bytes/workgroup (compile time only)
; SGPRBlocks: 2
; VGPRBlocks: 1
; NumSGPRsForWavesPerEU: 22
; NumVGPRsForWavesPerEU: 14
; AccumOffset: 16
; Occupancy: 8
; WaveLimiterHint : 0
; COMPUTE_PGM_RSRC2:SCRATCH_EN: 0
; COMPUTE_PGM_RSRC2:USER_SGPR: 6
; COMPUTE_PGM_RSRC2:TRAP_HANDLER: 0
; COMPUTE_PGM_RSRC2:TGID_X_EN: 1
; COMPUTE_PGM_RSRC2:TGID_Y_EN: 1
; COMPUTE_PGM_RSRC2:TGID_Z_EN: 1
; COMPUTE_PGM_RSRC2:TIDIG_COMP_CNT: 1
; COMPUTE_PGM_RSRC3_GFX90A:ACCUM_OFFSET: 3
; COMPUTE_PGM_RSRC3_GFX90A:TG_SPLIT: 0
	.section	.text._ZN9rocsolver6v33100L16orgl2_init_identI19rocblas_complex_numIdEPS3_EEviiiT0_iil,"axG",@progbits,_ZN9rocsolver6v33100L16orgl2_init_identI19rocblas_complex_numIdEPS3_EEviiiT0_iil,comdat
	.globl	_ZN9rocsolver6v33100L16orgl2_init_identI19rocblas_complex_numIdEPS3_EEviiiT0_iil ; -- Begin function _ZN9rocsolver6v33100L16orgl2_init_identI19rocblas_complex_numIdEPS3_EEviiiT0_iil
	.p2align	8
	.type	_ZN9rocsolver6v33100L16orgl2_init_identI19rocblas_complex_numIdEPS3_EEviiiT0_iil,@function
_ZN9rocsolver6v33100L16orgl2_init_identI19rocblas_complex_numIdEPS3_EEviiiT0_iil: ; @_ZN9rocsolver6v33100L16orgl2_init_identI19rocblas_complex_numIdEPS3_EEviiiT0_iil
; %bb.0:
	s_load_dword s0, s[4:5], 0x34
	s_load_dwordx4 s[12:15], s[4:5], 0x0
	v_bfe_u32 v1, v0, 10, 10
	v_and_b32_e32 v0, 0x3ff, v0
	s_waitcnt lgkmcnt(0)
	s_lshr_b32 s1, s0, 16
	s_and_b32 s0, s0, 0xffff
	s_mul_i32 s7, s7, s1
	s_mul_i32 s6, s6, s0
	v_add_u32_e32 v2, s7, v1
	v_add_u32_e32 v4, s6, v0
	v_cmp_gt_u32_e32 vcc, s12, v4
	v_cmp_gt_u32_e64 s[0:1], s13, v2
	s_and_b64 s[0:1], vcc, s[0:1]
	s_and_saveexec_b64 s[2:3], s[0:1]
	s_cbranch_execz .LBB66_5
; %bb.1:
	s_load_dwordx4 s[0:3], s[4:5], 0x10
	s_load_dwordx2 s[6:7], s[4:5], 0x20
	v_cmp_ne_u32_e32 vcc, v4, v2
                                        ; implicit-def: $vgpr0_vgpr1
	s_waitcnt lgkmcnt(0)
	s_ashr_i32 s5, s2, 31
	s_mov_b32 s4, s2
	s_mul_i32 s2, s8, s7
	s_mul_hi_u32 s7, s8, s6
	s_add_i32 s7, s7, s2
	s_mul_i32 s6, s8, s6
	s_lshl_b64 s[6:7], s[6:7], 4
	s_add_u32 s2, s0, s6
	s_addc_u32 s6, s1, s7
	s_lshl_b64 s[0:1], s[4:5], 4
	s_add_u32 s2, s2, s0
	s_addc_u32 s10, s6, s1
	s_mov_b64 s[4:5], 0
	s_and_saveexec_b64 s[0:1], vcc
	s_xor_b64 s[0:1], exec, s[0:1]
	s_cbranch_execnz .LBB66_6
; %bb.2:
	s_andn2_saveexec_b64 s[0:1], s[0:1]
	s_cbranch_execnz .LBB66_13
.LBB66_3:
	s_or_b64 exec, exec, s[0:1]
	s_and_b64 exec, exec, s[4:5]
	s_cbranch_execz .LBB66_5
.LBB66_4:
	v_mov_b32_e32 v2, 0
	v_mov_b32_e32 v3, v2
	global_store_dwordx2 v[0:1], v[2:3], off
.LBB66_5:
	s_endpgm
.LBB66_6:
	v_cmp_ge_u32_e32 vcc, v2, v4
                                        ; implicit-def: $vgpr0_vgpr1
	s_and_saveexec_b64 s[6:7], vcc
	s_xor_b64 s[6:7], exec, s[6:7]
	s_cbranch_execz .LBB66_10
; %bb.7:
	v_cmp_le_u32_e32 vcc, s14, v4
                                        ; implicit-def: $vgpr0_vgpr1
	s_and_saveexec_b64 s[8:9], vcc
	s_xor_b64 s[8:9], exec, s[8:9]
	s_cbranch_execz .LBB66_9
; %bb.8:
	v_mad_u64_u32 v[2:3], s[12:13], v2, s3, v[4:5]
	v_mov_b32_e32 v3, 0
	v_lshlrev_b64 v[0:1], 4, v[2:3]
	v_mov_b32_e32 v2, s10
	v_add_co_u32_e32 v4, vcc, s2, v0
	v_addc_co_u32_e32 v5, vcc, v2, v1, vcc
	v_add_co_u32_e32 v0, vcc, 8, v4
	s_mov_b64 s[4:5], exec
	v_addc_co_u32_e32 v1, vcc, 0, v5, vcc
	v_mov_b32_e32 v2, v3
	global_store_dwordx2 v[4:5], v[2:3], off
.LBB66_9:
	s_or_b64 exec, exec, s[8:9]
	s_and_b64 s[4:5], s[4:5], exec
                                        ; implicit-def: $vgpr4
                                        ; implicit-def: $vgpr2
.LBB66_10:
	s_andn2_saveexec_b64 s[6:7], s[6:7]
	s_cbranch_execz .LBB66_12
; %bb.11:
	v_mad_u64_u32 v[0:1], s[8:9], v2, s3, v[4:5]
	v_mov_b32_e32 v1, 0
	v_lshlrev_b64 v[2:3], 4, v[0:1]
	v_mov_b32_e32 v0, s10
	v_add_co_u32_e32 v2, vcc, s2, v2
	v_addc_co_u32_e32 v3, vcc, v0, v3, vcc
	v_mov_b32_e32 v0, v1
	global_store_dwordx2 v[2:3], v[0:1], off
	v_add_co_u32_e32 v0, vcc, 8, v2
	v_addc_co_u32_e32 v1, vcc, 0, v3, vcc
	s_or_b64 s[4:5], s[4:5], exec
.LBB66_12:
	s_or_b64 exec, exec, s[6:7]
	s_and_b64 s[4:5], s[4:5], exec
                                        ; implicit-def: $vgpr2
	s_andn2_saveexec_b64 s[0:1], s[0:1]
	s_cbranch_execz .LBB66_3
.LBB66_13:
	v_mad_u64_u32 v[0:1], s[6:7], v2, s3, v[2:3]
	v_mov_b32_e32 v1, 0
	v_lshlrev_b64 v[2:3], 4, v[0:1]
	v_mov_b32_e32 v0, s10
	v_add_co_u32_e32 v2, vcc, s2, v2
	v_addc_co_u32_e32 v3, vcc, v0, v3, vcc
	v_add_co_u32_e32 v0, vcc, 8, v2
	v_mov_b32_e32 v5, 0x3ff00000
	v_mov_b32_e32 v4, v1
	v_addc_co_u32_e32 v1, vcc, 0, v3, vcc
	s_or_b64 s[4:5], s[4:5], exec
	global_store_dwordx2 v[2:3], v[4:5], off
	s_or_b64 exec, exec, s[0:1]
	s_and_b64 exec, exec, s[4:5]
	s_cbranch_execnz .LBB66_4
	s_branch .LBB66_5
	.section	.rodata,"a",@progbits
	.p2align	6, 0x0
	.amdhsa_kernel _ZN9rocsolver6v33100L16orgl2_init_identI19rocblas_complex_numIdEPS3_EEviiiT0_iil
		.amdhsa_group_segment_fixed_size 0
		.amdhsa_private_segment_fixed_size 0
		.amdhsa_kernarg_size 296
		.amdhsa_user_sgpr_count 6
		.amdhsa_user_sgpr_private_segment_buffer 1
		.amdhsa_user_sgpr_dispatch_ptr 0
		.amdhsa_user_sgpr_queue_ptr 0
		.amdhsa_user_sgpr_kernarg_segment_ptr 1
		.amdhsa_user_sgpr_dispatch_id 0
		.amdhsa_user_sgpr_flat_scratch_init 0
		.amdhsa_user_sgpr_kernarg_preload_length 0
		.amdhsa_user_sgpr_kernarg_preload_offset 0
		.amdhsa_user_sgpr_private_segment_size 0
		.amdhsa_uses_dynamic_stack 0
		.amdhsa_system_sgpr_private_segment_wavefront_offset 0
		.amdhsa_system_sgpr_workgroup_id_x 1
		.amdhsa_system_sgpr_workgroup_id_y 1
		.amdhsa_system_sgpr_workgroup_id_z 1
		.amdhsa_system_sgpr_workgroup_info 0
		.amdhsa_system_vgpr_workitem_id 1
		.amdhsa_next_free_vgpr 6
		.amdhsa_next_free_sgpr 16
		.amdhsa_accum_offset 8
		.amdhsa_reserve_vcc 1
		.amdhsa_reserve_flat_scratch 0
		.amdhsa_float_round_mode_32 0
		.amdhsa_float_round_mode_16_64 0
		.amdhsa_float_denorm_mode_32 3
		.amdhsa_float_denorm_mode_16_64 3
		.amdhsa_dx10_clamp 1
		.amdhsa_ieee_mode 1
		.amdhsa_fp16_overflow 0
		.amdhsa_tg_split 0
		.amdhsa_exception_fp_ieee_invalid_op 0
		.amdhsa_exception_fp_denorm_src 0
		.amdhsa_exception_fp_ieee_div_zero 0
		.amdhsa_exception_fp_ieee_overflow 0
		.amdhsa_exception_fp_ieee_underflow 0
		.amdhsa_exception_fp_ieee_inexact 0
		.amdhsa_exception_int_div_zero 0
	.end_amdhsa_kernel
	.section	.text._ZN9rocsolver6v33100L16orgl2_init_identI19rocblas_complex_numIdEPS3_EEviiiT0_iil,"axG",@progbits,_ZN9rocsolver6v33100L16orgl2_init_identI19rocblas_complex_numIdEPS3_EEviiiT0_iil,comdat
.Lfunc_end66:
	.size	_ZN9rocsolver6v33100L16orgl2_init_identI19rocblas_complex_numIdEPS3_EEviiiT0_iil, .Lfunc_end66-_ZN9rocsolver6v33100L16orgl2_init_identI19rocblas_complex_numIdEPS3_EEviiiT0_iil
                                        ; -- End function
	.section	.AMDGPU.csdata,"",@progbits
; Kernel info:
; codeLenInByte = 472
; NumSgprs: 20
; NumVgprs: 6
; NumAgprs: 0
; TotalNumVgprs: 6
; ScratchSize: 0
; MemoryBound: 0
; FloatMode: 240
; IeeeMode: 1
; LDSByteSize: 0 bytes/workgroup (compile time only)
; SGPRBlocks: 2
; VGPRBlocks: 0
; NumSGPRsForWavesPerEU: 20
; NumVGPRsForWavesPerEU: 6
; AccumOffset: 8
; Occupancy: 8
; WaveLimiterHint : 0
; COMPUTE_PGM_RSRC2:SCRATCH_EN: 0
; COMPUTE_PGM_RSRC2:USER_SGPR: 6
; COMPUTE_PGM_RSRC2:TRAP_HANDLER: 0
; COMPUTE_PGM_RSRC2:TGID_X_EN: 1
; COMPUTE_PGM_RSRC2:TGID_Y_EN: 1
; COMPUTE_PGM_RSRC2:TGID_Z_EN: 1
; COMPUTE_PGM_RSRC2:TIDIG_COMP_CNT: 1
; COMPUTE_PGM_RSRC3_GFX90A:ACCUM_OFFSET: 1
; COMPUTE_PGM_RSRC3_GFX90A:TG_SPLIT: 0
	.section	.text._ZN9rocsolver6v33100L14copyshift_downI19rocblas_complex_numIdEPS3_EEvbiT0_iilPT_iil,"axG",@progbits,_ZN9rocsolver6v33100L14copyshift_downI19rocblas_complex_numIdEPS3_EEvbiT0_iilPT_iil,comdat
	.globl	_ZN9rocsolver6v33100L14copyshift_downI19rocblas_complex_numIdEPS3_EEvbiT0_iilPT_iil ; -- Begin function _ZN9rocsolver6v33100L14copyshift_downI19rocblas_complex_numIdEPS3_EEvbiT0_iilPT_iil
	.p2align	8
	.type	_ZN9rocsolver6v33100L14copyshift_downI19rocblas_complex_numIdEPS3_EEvbiT0_iilPT_iil,@function
_ZN9rocsolver6v33100L14copyshift_downI19rocblas_complex_numIdEPS3_EEvbiT0_iilPT_iil: ; @_ZN9rocsolver6v33100L14copyshift_downI19rocblas_complex_numIdEPS3_EEvbiT0_iilPT_iil
; %bb.0:
	s_load_dwordx4 s[12:15], s[4:5], 0x0
	s_load_dwordx4 s[0:3], s[4:5], 0x18
	s_load_dword s9, s[4:5], 0x44
	s_load_dwordx2 s[10:11], s[4:5], 0x10
	v_and_b32_e32 v1, 0x3ff, v0
	s_waitcnt lgkmcnt(0)
	s_bitcmp1_b32 s12, 0
	s_cselect_b64 s[16:17], -1, 0
	s_and_b32 s12, s9, 0xffff
	s_lshr_b32 s9, s9, 16
	s_mul_i32 s7, s7, s9
	s_mul_i32 s1, s8, s1
	s_mul_hi_u32 s9, s8, s0
	v_bfe_u32 v0, v0, 10, 10
	s_add_i32 s1, s9, s1
	s_mul_i32 s0, s8, s0
	s_xor_b64 s[16:17], s[16:17], -1
	s_mul_i32 s6, s6, s12
	v_add_u32_e32 v0, s7, v0
	s_ashr_i32 s7, s10, 31
	s_lshl_b64 s[0:1], s[0:1], 4
	v_add_u32_e32 v4, s6, v1
	s_mov_b32 s6, s10
	s_add_u32 s9, s14, s0
	s_addc_u32 s10, s15, s1
	s_lshl_b64 s[0:1], s[6:7], 4
	v_or_b32_e32 v1, v4, v0
	s_add_u32 s6, s9, s0
	v_cmp_eq_u32_e32 vcc, 0, v1
	s_addc_u32 s7, s10, s1
	s_and_b64 s[14:15], vcc, s[16:17]
	s_and_saveexec_b64 s[0:1], s[14:15]
	s_cbranch_execz .LBB67_2
; %bb.1:
	v_mov_b32_e32 v6, 0
	v_mov_b32_e32 v7, 0x3ff00000
	;; [unrolled: 1-line block ×4, first 2 shown]
	global_store_dwordx4 v6, v[6:9], s[6:7]
.LBB67_2:
	s_or_b64 exec, exec, s[0:1]
	v_max_u32_e32 v1, v0, v4
	v_cmp_gt_u32_e32 vcc, s13, v1
	v_cmp_le_u32_e64 s[0:1], v4, v0
	s_and_b64 s[0:1], s[0:1], vcc
	s_and_saveexec_b64 s[12:13], s[0:1]
	s_cbranch_execz .LBB67_11
; %bb.3:
	s_load_dword s0, s[4:5], 0x28
	s_load_dwordx2 s[12:13], s[4:5], 0x30
	v_add_u32_e32 v8, 1, v0
	v_mul_lo_u32 v1, v8, v0
	v_lshrrev_b32_e32 v1, 1, v1
	s_waitcnt lgkmcnt(0)
	s_ashr_i32 s1, s0, 31
	s_mul_i32 s5, s8, s13
	s_mul_hi_u32 s9, s8, s12
	s_mul_i32 s4, s8, s12
	s_add_i32 s5, s9, s5
	s_lshl_b64 s[4:5], s[4:5], 4
	s_add_u32 s2, s2, s4
	s_addc_u32 s3, s3, s5
	s_lshl_b64 s[0:1], s[0:1], 4
	s_add_u32 s2, s2, s0
	s_addc_u32 s3, s3, s1
	s_mov_b64 s[0:1], -1
	s_and_b64 vcc, exec, s[16:17]
	v_add_u32_e32 v6, v4, v1
	s_cbranch_vccz .LBB67_7
; %bb.4:
	v_mov_b32_e32 v7, 0
	v_lshlrev_b64 v[2:3], 4, v[6:7]
	v_mov_b32_e32 v1, s3
	v_add_co_u32_e32 v2, vcc, s2, v2
	v_addc_co_u32_e32 v3, vcc, v1, v3, vcc
	global_load_dwordx4 v[10:13], v[2:3], off
	v_mad_u64_u32 v[2:3], s[0:1], v8, s11, v[4:5]
	v_mov_b32_e32 v3, v7
	v_lshlrev_b64 v[2:3], 4, v[2:3]
	v_mov_b32_e32 v1, s7
	v_add_co_u32_e32 v2, vcc, s6, v2
	v_addc_co_u32_e32 v3, vcc, v1, v3, vcc
	v_cmp_eq_u32_e32 vcc, v4, v0
	s_waitcnt vmcnt(0)
	global_store_dwordx4 v[2:3], v[10:13], off
	s_and_saveexec_b64 s[0:1], vcc
	s_cbranch_execz .LBB67_6
; %bb.5:
	v_mov_b32_e32 v5, v7
	v_lshlrev_b64 v[0:1], 4, v[4:5]
	v_mov_b32_e32 v2, s7
	v_add_co_u32_e32 v10, vcc, s6, v0
	v_addc_co_u32_e32 v11, vcc, v2, v1, vcc
	v_mov_b32_e32 v0, v7
	v_mov_b32_e32 v1, v7
	;; [unrolled: 1-line block ×4, first 2 shown]
	global_store_dwordx4 v[10:11], v[0:3], off offset:16
.LBB67_6:
	s_or_b64 exec, exec, s[0:1]
	s_mov_b64 s[0:1], 0
.LBB67_7:
	s_andn2_b64 vcc, exec, s[0:1]
	s_cbranch_vccnz .LBB67_11
; %bb.8:
	v_pk_mov_b32 v[0:1], 0, 0
	v_cmp_ne_u32_e32 vcc, 0, v4
	v_pk_mov_b32 v[2:3], v[0:1], v[0:1] op_sel:[0,1]
	s_and_saveexec_b64 s[0:1], vcc
	s_cbranch_execz .LBB67_10
; %bb.9:
	v_mul_lo_u32 v0, v8, s11
	v_add3_u32 v0, v4, v0, -1
	v_mov_b32_e32 v1, 0
	v_lshlrev_b64 v[0:1], 4, v[0:1]
	v_mov_b32_e32 v2, s7
	v_add_co_u32_e32 v0, vcc, s6, v0
	v_addc_co_u32_e32 v1, vcc, v2, v1, vcc
	global_load_dwordx4 v[0:3], v[0:1], off
.LBB67_10:
	s_or_b64 exec, exec, s[0:1]
	v_mov_b32_e32 v7, 0
	v_lshlrev_b64 v[4:5], 4, v[6:7]
	v_mov_b32_e32 v6, s3
	v_add_co_u32_e32 v4, vcc, s2, v4
	v_addc_co_u32_e32 v5, vcc, v6, v5, vcc
	s_waitcnt vmcnt(0)
	global_store_dwordx4 v[4:5], v[0:3], off
.LBB67_11:
	s_endpgm
	.section	.rodata,"a",@progbits
	.p2align	6, 0x0
	.amdhsa_kernel _ZN9rocsolver6v33100L14copyshift_downI19rocblas_complex_numIdEPS3_EEvbiT0_iilPT_iil
		.amdhsa_group_segment_fixed_size 0
		.amdhsa_private_segment_fixed_size 0
		.amdhsa_kernarg_size 312
		.amdhsa_user_sgpr_count 6
		.amdhsa_user_sgpr_private_segment_buffer 1
		.amdhsa_user_sgpr_dispatch_ptr 0
		.amdhsa_user_sgpr_queue_ptr 0
		.amdhsa_user_sgpr_kernarg_segment_ptr 1
		.amdhsa_user_sgpr_dispatch_id 0
		.amdhsa_user_sgpr_flat_scratch_init 0
		.amdhsa_user_sgpr_kernarg_preload_length 0
		.amdhsa_user_sgpr_kernarg_preload_offset 0
		.amdhsa_user_sgpr_private_segment_size 0
		.amdhsa_uses_dynamic_stack 0
		.amdhsa_system_sgpr_private_segment_wavefront_offset 0
		.amdhsa_system_sgpr_workgroup_id_x 1
		.amdhsa_system_sgpr_workgroup_id_y 1
		.amdhsa_system_sgpr_workgroup_id_z 1
		.amdhsa_system_sgpr_workgroup_info 0
		.amdhsa_system_vgpr_workitem_id 1
		.amdhsa_next_free_vgpr 14
		.amdhsa_next_free_sgpr 18
		.amdhsa_accum_offset 16
		.amdhsa_reserve_vcc 1
		.amdhsa_reserve_flat_scratch 0
		.amdhsa_float_round_mode_32 0
		.amdhsa_float_round_mode_16_64 0
		.amdhsa_float_denorm_mode_32 3
		.amdhsa_float_denorm_mode_16_64 3
		.amdhsa_dx10_clamp 1
		.amdhsa_ieee_mode 1
		.amdhsa_fp16_overflow 0
		.amdhsa_tg_split 0
		.amdhsa_exception_fp_ieee_invalid_op 0
		.amdhsa_exception_fp_denorm_src 0
		.amdhsa_exception_fp_ieee_div_zero 0
		.amdhsa_exception_fp_ieee_overflow 0
		.amdhsa_exception_fp_ieee_underflow 0
		.amdhsa_exception_fp_ieee_inexact 0
		.amdhsa_exception_int_div_zero 0
	.end_amdhsa_kernel
	.section	.text._ZN9rocsolver6v33100L14copyshift_downI19rocblas_complex_numIdEPS3_EEvbiT0_iilPT_iil,"axG",@progbits,_ZN9rocsolver6v33100L14copyshift_downI19rocblas_complex_numIdEPS3_EEvbiT0_iilPT_iil,comdat
.Lfunc_end67:
	.size	_ZN9rocsolver6v33100L14copyshift_downI19rocblas_complex_numIdEPS3_EEvbiT0_iilPT_iil, .Lfunc_end67-_ZN9rocsolver6v33100L14copyshift_downI19rocblas_complex_numIdEPS3_EEvbiT0_iilPT_iil
                                        ; -- End function
	.section	.AMDGPU.csdata,"",@progbits
; Kernel info:
; codeLenInByte = 588
; NumSgprs: 22
; NumVgprs: 14
; NumAgprs: 0
; TotalNumVgprs: 14
; ScratchSize: 0
; MemoryBound: 0
; FloatMode: 240
; IeeeMode: 1
; LDSByteSize: 0 bytes/workgroup (compile time only)
; SGPRBlocks: 2
; VGPRBlocks: 1
; NumSGPRsForWavesPerEU: 22
; NumVGPRsForWavesPerEU: 14
; AccumOffset: 16
; Occupancy: 8
; WaveLimiterHint : 0
; COMPUTE_PGM_RSRC2:SCRATCH_EN: 0
; COMPUTE_PGM_RSRC2:USER_SGPR: 6
; COMPUTE_PGM_RSRC2:TRAP_HANDLER: 0
; COMPUTE_PGM_RSRC2:TGID_X_EN: 1
; COMPUTE_PGM_RSRC2:TGID_Y_EN: 1
; COMPUTE_PGM_RSRC2:TGID_Z_EN: 1
; COMPUTE_PGM_RSRC2:TIDIG_COMP_CNT: 1
; COMPUTE_PGM_RSRC3_GFX90A:ACCUM_OFFSET: 3
; COMPUTE_PGM_RSRC3_GFX90A:TG_SPLIT: 0
	.text
	.p2alignl 6, 3212836864
	.fill 256, 4, 3212836864
	.type	__hip_cuid_642843da25914be2,@object ; @__hip_cuid_642843da25914be2
	.section	.bss,"aw",@nobits
	.globl	__hip_cuid_642843da25914be2
__hip_cuid_642843da25914be2:
	.byte	0                               ; 0x0
	.size	__hip_cuid_642843da25914be2, 1

	.ident	"AMD clang version 19.0.0git (https://github.com/RadeonOpenCompute/llvm-project roc-6.4.0 25133 c7fe45cf4b819c5991fe208aaa96edf142730f1d)"
	.section	".note.GNU-stack","",@progbits
	.addrsig
	.addrsig_sym __hip_cuid_642843da25914be2
	.amdgpu_metadata
---
amdhsa.kernels:
  - .agpr_count:     0
    .args:
      - .address_space:  global
        .offset:         0
        .size:           8
        .value_kind:     global_buffer
      - .offset:         8
        .size:           4
        .value_kind:     by_value
      - .offset:         12
        .size:           4
        .value_kind:     by_value
    .group_segment_fixed_size: 0
    .kernarg_segment_align: 8
    .kernarg_segment_size: 16
    .language:       OpenCL C
    .language_version:
      - 2
      - 0
    .max_flat_workgroup_size: 32
    .name:           _ZN9rocsolver6v33100L6iota_nIfEEvPT_jS2_
    .private_segment_fixed_size: 0
    .sgpr_count:     10
    .sgpr_spill_count: 0
    .symbol:         _ZN9rocsolver6v33100L6iota_nIfEEvPT_jS2_.kd
    .uniform_work_group_size: 1
    .uses_dynamic_stack: false
    .vgpr_count:     2
    .vgpr_spill_count: 0
    .wavefront_size: 64
  - .agpr_count:     0
    .args:
      - .offset:         0
        .size:           4
        .value_kind:     by_value
      - .offset:         4
        .size:           4
        .value_kind:     by_value
      - .offset:         8
        .size:           4
        .value_kind:     by_value
      - .address_space:  global
        .offset:         16
        .size:           8
        .value_kind:     global_buffer
      - .offset:         24
        .size:           4
        .value_kind:     by_value
      - .offset:         28
        .size:           4
        .value_kind:     by_value
      - .offset:         32
        .size:           8
        .value_kind:     by_value
      - .offset:         40
        .size:           4
        .value_kind:     hidden_block_count_x
      - .offset:         44
        .size:           4
        .value_kind:     hidden_block_count_y
      - .offset:         48
        .size:           4
        .value_kind:     hidden_block_count_z
      - .offset:         52
        .size:           2
        .value_kind:     hidden_group_size_x
      - .offset:         54
        .size:           2
        .value_kind:     hidden_group_size_y
      - .offset:         56
        .size:           2
        .value_kind:     hidden_group_size_z
      - .offset:         58
        .size:           2
        .value_kind:     hidden_remainder_x
      - .offset:         60
        .size:           2
        .value_kind:     hidden_remainder_y
      - .offset:         62
        .size:           2
        .value_kind:     hidden_remainder_z
      - .offset:         80
        .size:           8
        .value_kind:     hidden_global_offset_x
      - .offset:         88
        .size:           8
        .value_kind:     hidden_global_offset_y
      - .offset:         96
        .size:           8
        .value_kind:     hidden_global_offset_z
      - .offset:         104
        .size:           2
        .value_kind:     hidden_grid_dims
    .group_segment_fixed_size: 0
    .kernarg_segment_align: 8
    .kernarg_segment_size: 296
    .language:       OpenCL C
    .language_version:
      - 2
      - 0
    .max_flat_workgroup_size: 1024
    .name:           _ZN9rocsolver6v33100L16org2r_init_identIfPfEEviiiT0_iil
    .private_segment_fixed_size: 0
    .sgpr_count:     20
    .sgpr_spill_count: 0
    .symbol:         _ZN9rocsolver6v33100L16org2r_init_identIfPfEEviiiT0_iil.kd
    .uniform_work_group_size: 1
    .uses_dynamic_stack: false
    .vgpr_count:     6
    .vgpr_spill_count: 0
    .wavefront_size: 64
  - .agpr_count:     0
    .args:
      - .offset:         0
        .size:           4
        .value_kind:     by_value
      - .offset:         4
        .size:           4
        .value_kind:     by_value
      - .address_space:  global
        .offset:         8
        .size:           8
        .value_kind:     global_buffer
      - .offset:         16
        .size:           8
        .value_kind:     by_value
      - .offset:         24
        .size:           4
        .value_kind:     by_value
      - .offset:         32
        .size:           8
        .value_kind:     by_value
      - .address_space:  global
        .offset:         40
        .size:           8
        .value_kind:     global_buffer
      - .offset:         48
        .size:           8
        .value_kind:     by_value
      - .address_space:  global
        .offset:         56
        .size:           8
        .value_kind:     global_buffer
      - .offset:         64
        .size:           8
        .value_kind:     by_value
      - .offset:         72
        .size:           4
        .value_kind:     by_value
      - .offset:         80
        .size:           8
        .value_kind:     by_value
    .group_segment_fixed_size: 0
    .kernarg_segment_align: 8
    .kernarg_segment_size: 88
    .language:       OpenCL C
    .language_version:
      - 2
      - 0
    .max_flat_workgroup_size: 1024
    .name:           _ZN9rocsolver6v33100L16larf_left_kernelILi1024EfiPfEEvT1_S3_T2_lS3_lPKT0_lS4_lS3_l
    .private_segment_fixed_size: 0
    .sgpr_count:     44
    .sgpr_spill_count: 0
    .symbol:         _ZN9rocsolver6v33100L16larf_left_kernelILi1024EfiPfEEvT1_S3_T2_lS3_lPKT0_lS4_lS3_l.kd
    .uniform_work_group_size: 1
    .uses_dynamic_stack: false
    .vgpr_count:     22
    .vgpr_spill_count: 0
    .wavefront_size: 64
  - .agpr_count:     0
    .args:
      - .offset:         0
        .size:           4
        .value_kind:     by_value
      - .offset:         4
        .size:           4
        .value_kind:     by_value
      - .address_space:  global
        .offset:         8
        .size:           8
        .value_kind:     global_buffer
      - .offset:         16
        .size:           8
        .value_kind:     by_value
      - .offset:         24
        .size:           4
        .value_kind:     by_value
      - .offset:         32
        .size:           8
        .value_kind:     by_value
      - .address_space:  global
        .offset:         40
        .size:           8
        .value_kind:     global_buffer
      - .offset:         48
        .size:           8
        .value_kind:     by_value
      - .address_space:  global
        .offset:         56
        .size:           8
        .value_kind:     global_buffer
      - .offset:         64
        .size:           8
        .value_kind:     by_value
      - .offset:         72
        .size:           4
        .value_kind:     by_value
      - .offset:         80
        .size:           8
        .value_kind:     by_value
    .group_segment_fixed_size: 0
    .kernarg_segment_align: 8
    .kernarg_segment_size: 88
    .language:       OpenCL C
    .language_version:
      - 2
      - 0
    .max_flat_workgroup_size: 1024
    .name:           _ZN9rocsolver6v33100L17larf_right_kernelILi1024EfiPfEEvT1_S3_T2_lS3_lPKT0_lS4_lS3_l
    .private_segment_fixed_size: 0
    .sgpr_count:     44
    .sgpr_spill_count: 0
    .symbol:         _ZN9rocsolver6v33100L17larf_right_kernelILi1024EfiPfEEvT1_S3_T2_lS3_lPKT0_lS4_lS3_l.kd
    .uniform_work_group_size: 1
    .uses_dynamic_stack: false
    .vgpr_count:     18
    .vgpr_spill_count: 0
    .wavefront_size: 64
  - .agpr_count:     0
    .args:
      - .offset:         0
        .size:           4
        .value_kind:     by_value
      - .offset:         4
        .size:           4
        .value_kind:     by_value
      - .address_space:  global
        .offset:         8
        .size:           8
        .value_kind:     global_buffer
      - .offset:         16
        .size:           4
        .value_kind:     by_value
      - .offset:         20
        .size:           4
        .value_kind:     by_value
      - .offset:         24
        .size:           8
        .value_kind:     by_value
      - .address_space:  global
        .offset:         32
        .size:           8
        .value_kind:     global_buffer
      - .offset:         40
        .size:           8
        .value_kind:     by_value
    .group_segment_fixed_size: 0
    .kernarg_segment_align: 8
    .kernarg_segment_size: 48
    .language:       OpenCL C
    .language_version:
      - 2
      - 0
    .max_flat_workgroup_size: 1024
    .name:           _ZN9rocsolver6v33100L12subtract_tauIfPfEEviiT0_iilPT_l
    .private_segment_fixed_size: 0
    .sgpr_count:     20
    .sgpr_spill_count: 0
    .symbol:         _ZN9rocsolver6v33100L12subtract_tauIfPfEEviiT0_iilPT_l.kd
    .uniform_work_group_size: 1
    .uses_dynamic_stack: false
    .vgpr_count:     2
    .vgpr_spill_count: 0
    .wavefront_size: 64
  - .agpr_count:     0
    .args:
      - .offset:         0
        .size:           4
        .value_kind:     by_value
      - .address_space:  global
        .offset:         8
        .size:           8
        .value_kind:     global_buffer
      - .offset:         16
        .size:           8
        .value_kind:     by_value
      - .offset:         24
        .size:           4
        .value_kind:     hidden_block_count_x
      - .offset:         28
        .size:           4
        .value_kind:     hidden_block_count_y
      - .offset:         32
        .size:           4
        .value_kind:     hidden_block_count_z
      - .offset:         36
        .size:           2
        .value_kind:     hidden_group_size_x
      - .offset:         38
        .size:           2
        .value_kind:     hidden_group_size_y
      - .offset:         40
        .size:           2
        .value_kind:     hidden_group_size_z
      - .offset:         42
        .size:           2
        .value_kind:     hidden_remainder_x
      - .offset:         44
        .size:           2
        .value_kind:     hidden_remainder_y
      - .offset:         46
        .size:           2
        .value_kind:     hidden_remainder_z
      - .offset:         64
        .size:           8
        .value_kind:     hidden_global_offset_x
      - .offset:         72
        .size:           8
        .value_kind:     hidden_global_offset_y
      - .offset:         80
        .size:           8
        .value_kind:     hidden_global_offset_z
      - .offset:         88
        .size:           2
        .value_kind:     hidden_grid_dims
    .group_segment_fixed_size: 0
    .kernarg_segment_align: 8
    .kernarg_segment_size: 280
    .language:       OpenCL C
    .language_version:
      - 2
      - 0
    .max_flat_workgroup_size: 1024
    .name:           _ZN9rocsolver6v33100L6restauIfEEviPT_l
    .private_segment_fixed_size: 0
    .sgpr_count:     12
    .sgpr_spill_count: 0
    .symbol:         _ZN9rocsolver6v33100L6restauIfEEviPT_l.kd
    .uniform_work_group_size: 1
    .uses_dynamic_stack: false
    .vgpr_count:     3
    .vgpr_spill_count: 0
    .wavefront_size: 64
  - .agpr_count:     0
    .args:
      - .offset:         0
        .size:           4
        .value_kind:     by_value
      - .offset:         4
        .size:           4
        .value_kind:     by_value
      - .address_space:  global
        .offset:         8
        .size:           8
        .value_kind:     global_buffer
      - .offset:         16
        .size:           4
        .value_kind:     by_value
      - .offset:         20
        .size:           4
        .value_kind:     by_value
      - .offset:         24
        .size:           8
        .value_kind:     by_value
      - .offset:         32
        .size:           4
        .value_kind:     by_value
      - .offset:         40
        .size:           4
        .value_kind:     hidden_block_count_x
      - .offset:         44
        .size:           4
        .value_kind:     hidden_block_count_y
      - .offset:         48
        .size:           4
        .value_kind:     hidden_block_count_z
      - .offset:         52
        .size:           2
        .value_kind:     hidden_group_size_x
      - .offset:         54
        .size:           2
        .value_kind:     hidden_group_size_y
      - .offset:         56
        .size:           2
        .value_kind:     hidden_group_size_z
      - .offset:         58
        .size:           2
        .value_kind:     hidden_remainder_x
      - .offset:         60
        .size:           2
        .value_kind:     hidden_remainder_y
      - .offset:         62
        .size:           2
        .value_kind:     hidden_remainder_z
      - .offset:         80
        .size:           8
        .value_kind:     hidden_global_offset_x
      - .offset:         88
        .size:           8
        .value_kind:     hidden_global_offset_y
      - .offset:         96
        .size:           8
        .value_kind:     hidden_global_offset_z
      - .offset:         104
        .size:           2
        .value_kind:     hidden_grid_dims
    .group_segment_fixed_size: 0
    .kernarg_segment_align: 8
    .kernarg_segment_size: 296
    .language:       OpenCL C
    .language_version:
      - 2
      - 0
    .max_flat_workgroup_size: 1024
    .name:           _ZN9rocsolver6v33100L8set_zeroIfPfEEviiT0_iil13rocblas_fill_
    .private_segment_fixed_size: 0
    .sgpr_count:     13
    .sgpr_spill_count: 0
    .symbol:         _ZN9rocsolver6v33100L8set_zeroIfPfEEviiT0_iil13rocblas_fill_.kd
    .uniform_work_group_size: 1
    .uses_dynamic_stack: false
    .vgpr_count:     4
    .vgpr_spill_count: 0
    .wavefront_size: 64
  - .agpr_count:     0
    .args:
      - .offset:         0
        .size:           4
        .value_kind:     by_value
      - .offset:         4
        .size:           4
        .value_kind:     by_value
      - .address_space:  global
        .offset:         8
        .size:           8
        .value_kind:     global_buffer
      - .offset:         16
        .size:           4
        .value_kind:     by_value
      - .offset:         20
        .size:           4
        .value_kind:     by_value
      - .offset:         24
        .size:           8
        .value_kind:     by_value
      - .address_space:  global
        .offset:         32
        .size:           8
        .value_kind:     global_buffer
      - .offset:         40
        .size:           8
        .value_kind:     by_value
      - .address_space:  global
        .offset:         48
        .size:           8
        .value_kind:     global_buffer
      - .offset:         56
        .size:           4
        .value_kind:     by_value
      - .offset:         64
        .size:           8
        .value_kind:     by_value
      - .offset:         72
        .size:           4
        .value_kind:     by_value
      - .offset:         76
        .size:           4
        .value_kind:     by_value
      - .offset:         80
        .size:           1
        .value_kind:     by_value
      - .offset:         88
        .size:           4
        .value_kind:     hidden_block_count_x
      - .offset:         92
        .size:           4
        .value_kind:     hidden_block_count_y
      - .offset:         96
        .size:           4
        .value_kind:     hidden_block_count_z
      - .offset:         100
        .size:           2
        .value_kind:     hidden_group_size_x
      - .offset:         102
        .size:           2
        .value_kind:     hidden_group_size_y
      - .offset:         104
        .size:           2
        .value_kind:     hidden_group_size_z
      - .offset:         106
        .size:           2
        .value_kind:     hidden_remainder_x
      - .offset:         108
        .size:           2
        .value_kind:     hidden_remainder_y
      - .offset:         110
        .size:           2
        .value_kind:     hidden_remainder_z
      - .offset:         128
        .size:           8
        .value_kind:     hidden_global_offset_x
      - .offset:         136
        .size:           8
        .value_kind:     hidden_global_offset_y
      - .offset:         144
        .size:           8
        .value_kind:     hidden_global_offset_z
      - .offset:         152
        .size:           2
        .value_kind:     hidden_grid_dims
    .group_segment_fixed_size: 0
    .kernarg_segment_align: 8
    .kernarg_segment_size: 344
    .language:       OpenCL C
    .language_version:
      - 2
      - 0
    .max_flat_workgroup_size: 1024
    .name:           _ZN9rocsolver6v33100L14set_triangularIfPfTnNSt9enable_ifIXnt18rocblas_is_complexIT_EEiE4typeELi0EEEviiT0_iilPS4_lS8_il15rocblas_direct_15rocblas_storev_b
    .private_segment_fixed_size: 0
    .sgpr_count:     27
    .sgpr_spill_count: 0
    .symbol:         _ZN9rocsolver6v33100L14set_triangularIfPfTnNSt9enable_ifIXnt18rocblas_is_complexIT_EEiE4typeELi0EEEviiT0_iilPS4_lS8_il15rocblas_direct_15rocblas_storev_b.kd
    .uniform_work_group_size: 1
    .uses_dynamic_stack: false
    .vgpr_count:     15
    .vgpr_spill_count: 0
    .wavefront_size: 64
  - .agpr_count:     0
    .args:
      - .offset:         0
        .size:           4
        .value_kind:     by_value
      - .address_space:  global
        .offset:         8
        .size:           8
        .value_kind:     global_buffer
      - .offset:         16
        .size:           8
        .value_kind:     by_value
      - .offset:         24
        .size:           4
        .value_kind:     hidden_block_count_x
      - .offset:         28
        .size:           4
        .value_kind:     hidden_block_count_y
      - .offset:         32
        .size:           4
        .value_kind:     hidden_block_count_z
      - .offset:         36
        .size:           2
        .value_kind:     hidden_group_size_x
      - .offset:         38
        .size:           2
        .value_kind:     hidden_group_size_y
      - .offset:         40
        .size:           2
        .value_kind:     hidden_group_size_z
      - .offset:         42
        .size:           2
        .value_kind:     hidden_remainder_x
      - .offset:         44
        .size:           2
        .value_kind:     hidden_remainder_y
      - .offset:         46
        .size:           2
        .value_kind:     hidden_remainder_z
      - .offset:         64
        .size:           8
        .value_kind:     hidden_global_offset_x
      - .offset:         72
        .size:           8
        .value_kind:     hidden_global_offset_y
      - .offset:         80
        .size:           8
        .value_kind:     hidden_global_offset_z
      - .offset:         88
        .size:           2
        .value_kind:     hidden_grid_dims
    .group_segment_fixed_size: 0
    .kernarg_segment_align: 8
    .kernarg_segment_size: 280
    .language:       OpenCL C
    .language_version:
      - 2
      - 0
    .max_flat_workgroup_size: 1024
    .name:           _ZN9rocsolver6v33100L7set_tauIfEEviPT_l
    .private_segment_fixed_size: 0
    .sgpr_count:     12
    .sgpr_spill_count: 0
    .symbol:         _ZN9rocsolver6v33100L7set_tauIfEEviPT_l.kd
    .uniform_work_group_size: 1
    .uses_dynamic_stack: false
    .vgpr_count:     3
    .vgpr_spill_count: 0
    .wavefront_size: 64
  - .agpr_count:     0
    .args:
      - .offset:         0
        .size:           4
        .value_kind:     by_value
      - .offset:         4
        .size:           4
        .value_kind:     by_value
      - .offset:         8
        .size:           4
        .value_kind:     by_value
      - .address_space:  global
        .offset:         16
        .size:           8
        .value_kind:     global_buffer
      - .offset:         24
        .size:           4
        .value_kind:     by_value
      - .offset:         28
        .size:           4
        .value_kind:     by_value
      - .offset:         32
        .size:           8
        .value_kind:     by_value
      - .address_space:  global
        .offset:         40
        .size:           8
        .value_kind:     global_buffer
      - .offset:         48
        .size:           8
        .value_kind:     by_value
      - .address_space:  global
        .offset:         56
        .size:           8
        .value_kind:     global_buffer
      - .offset:         64
        .size:           4
        .value_kind:     by_value
      - .offset:         72
        .size:           8
        .value_kind:     by_value
      - .offset:         80
        .size:           4
        .value_kind:     hidden_block_count_x
      - .offset:         84
        .size:           4
        .value_kind:     hidden_block_count_y
      - .offset:         88
        .size:           4
        .value_kind:     hidden_block_count_z
      - .offset:         92
        .size:           2
        .value_kind:     hidden_group_size_x
      - .offset:         94
        .size:           2
        .value_kind:     hidden_group_size_y
      - .offset:         96
        .size:           2
        .value_kind:     hidden_group_size_z
      - .offset:         98
        .size:           2
        .value_kind:     hidden_remainder_x
      - .offset:         100
        .size:           2
        .value_kind:     hidden_remainder_y
      - .offset:         102
        .size:           2
        .value_kind:     hidden_remainder_z
      - .offset:         120
        .size:           8
        .value_kind:     hidden_global_offset_x
      - .offset:         128
        .size:           8
        .value_kind:     hidden_global_offset_y
      - .offset:         136
        .size:           8
        .value_kind:     hidden_global_offset_z
      - .offset:         144
        .size:           2
        .value_kind:     hidden_grid_dims
      - .offset:         200
        .size:           4
        .value_kind:     hidden_dynamic_lds_size
    .group_segment_fixed_size: 0
    .kernarg_segment_align: 8
    .kernarg_segment_size: 336
    .language:       OpenCL C
    .language_version:
      - 2
      - 0
    .max_flat_workgroup_size: 1024
    .name:           _ZN9rocsolver6v33100L20larft_kernel_forwardIfPfEEv15rocblas_storev_iiT0_iilPT_lS6_il
    .private_segment_fixed_size: 0
    .sgpr_count:     52
    .sgpr_spill_count: 0
    .symbol:         _ZN9rocsolver6v33100L20larft_kernel_forwardIfPfEEv15rocblas_storev_iiT0_iilPT_lS6_il.kd
    .uniform_work_group_size: 1
    .uses_dynamic_stack: false
    .vgpr_count:     21
    .vgpr_spill_count: 0
    .wavefront_size: 64
  - .agpr_count:     0
    .args:
      - .offset:         0
        .size:           4
        .value_kind:     by_value
      - .offset:         4
        .size:           4
        .value_kind:     by_value
      - .address_space:  global
        .offset:         8
        .size:           8
        .value_kind:     global_buffer
      - .offset:         16
        .size:           8
        .value_kind:     by_value
      - .offset:         24
        .size:           4
        .value_kind:     by_value
      - .offset:         32
        .size:           8
        .value_kind:     by_value
    .group_segment_fixed_size: 0
    .kernarg_segment_align: 8
    .kernarg_segment_size: 40
    .language:       OpenCL C
    .language_version:
      - 2
      - 0
    .max_flat_workgroup_size: 1024
    .name:           _ZN9rocsolver6v33100L13conj_in_placeIfiPfTnNSt9enable_ifIXnt18rocblas_is_complexIT_EEiE4typeELi0EEEvT0_S7_T1_lS7_l
    .private_segment_fixed_size: 0
    .sgpr_count:     4
    .sgpr_spill_count: 0
    .symbol:         _ZN9rocsolver6v33100L13conj_in_placeIfiPfTnNSt9enable_ifIXnt18rocblas_is_complexIT_EEiE4typeELi0EEEvT0_S7_T1_lS7_l.kd
    .uniform_work_group_size: 1
    .uses_dynamic_stack: false
    .vgpr_count:     0
    .vgpr_spill_count: 0
    .wavefront_size: 64
  - .agpr_count:     0
    .args:
      - .offset:         0
        .size:           4
        .value_kind:     by_value
      - .offset:         4
        .size:           4
        .value_kind:     by_value
      - .offset:         8
        .size:           4
        .value_kind:     by_value
      - .address_space:  global
        .offset:         16
        .size:           8
        .value_kind:     global_buffer
      - .offset:         24
        .size:           4
        .value_kind:     by_value
      - .offset:         28
        .size:           4
        .value_kind:     by_value
      - .offset:         32
        .size:           8
        .value_kind:     by_value
      - .address_space:  global
        .offset:         40
        .size:           8
        .value_kind:     global_buffer
      - .offset:         48
        .size:           8
        .value_kind:     by_value
      - .address_space:  global
        .offset:         56
        .size:           8
        .value_kind:     global_buffer
      - .offset:         64
        .size:           4
        .value_kind:     by_value
      - .offset:         72
        .size:           8
        .value_kind:     by_value
      - .offset:         80
        .size:           4
        .value_kind:     hidden_block_count_x
      - .offset:         84
        .size:           4
        .value_kind:     hidden_block_count_y
      - .offset:         88
        .size:           4
        .value_kind:     hidden_block_count_z
      - .offset:         92
        .size:           2
        .value_kind:     hidden_group_size_x
      - .offset:         94
        .size:           2
        .value_kind:     hidden_group_size_y
      - .offset:         96
        .size:           2
        .value_kind:     hidden_group_size_z
      - .offset:         98
        .size:           2
        .value_kind:     hidden_remainder_x
      - .offset:         100
        .size:           2
        .value_kind:     hidden_remainder_y
      - .offset:         102
        .size:           2
        .value_kind:     hidden_remainder_z
      - .offset:         120
        .size:           8
        .value_kind:     hidden_global_offset_x
      - .offset:         128
        .size:           8
        .value_kind:     hidden_global_offset_y
      - .offset:         136
        .size:           8
        .value_kind:     hidden_global_offset_z
      - .offset:         144
        .size:           2
        .value_kind:     hidden_grid_dims
      - .offset:         200
        .size:           4
        .value_kind:     hidden_dynamic_lds_size
    .group_segment_fixed_size: 0
    .kernarg_segment_align: 8
    .kernarg_segment_size: 336
    .language:       OpenCL C
    .language_version:
      - 2
      - 0
    .max_flat_workgroup_size: 1024
    .name:           _ZN9rocsolver6v33100L21larft_kernel_backwardIfPfEEv15rocblas_storev_iiT0_iilPT_lS6_il
    .private_segment_fixed_size: 0
    .sgpr_count:     53
    .sgpr_spill_count: 0
    .symbol:         _ZN9rocsolver6v33100L21larft_kernel_backwardIfPfEEv15rocblas_storev_iiT0_iilPT_lS6_il.kd
    .uniform_work_group_size: 1
    .uses_dynamic_stack: false
    .vgpr_count:     13
    .vgpr_spill_count: 0
    .wavefront_size: 64
  - .agpr_count:     0
    .args:
      - .offset:         0
        .size:           4
        .value_kind:     by_value
      - .offset:         4
        .size:           4
        .value_kind:     by_value
      - .address_space:  global
        .offset:         8
        .size:           8
        .value_kind:     global_buffer
      - .offset:         16
        .size:           4
        .value_kind:     by_value
      - .offset:         20
        .size:           4
        .value_kind:     by_value
      - .offset:         24
        .size:           8
        .value_kind:     by_value
      - .address_space:  global
        .offset:         32
        .size:           8
        .value_kind:     global_buffer
      - .offset:         40
        .size:           4
        .value_kind:     hidden_block_count_x
      - .offset:         44
        .size:           4
        .value_kind:     hidden_block_count_y
      - .offset:         48
        .size:           4
        .value_kind:     hidden_block_count_z
      - .offset:         52
        .size:           2
        .value_kind:     hidden_group_size_x
      - .offset:         54
        .size:           2
        .value_kind:     hidden_group_size_y
      - .offset:         56
        .size:           2
        .value_kind:     hidden_group_size_z
      - .offset:         58
        .size:           2
        .value_kind:     hidden_remainder_x
      - .offset:         60
        .size:           2
        .value_kind:     hidden_remainder_y
      - .offset:         62
        .size:           2
        .value_kind:     hidden_remainder_z
      - .offset:         80
        .size:           8
        .value_kind:     hidden_global_offset_x
      - .offset:         88
        .size:           8
        .value_kind:     hidden_global_offset_y
      - .offset:         96
        .size:           8
        .value_kind:     hidden_global_offset_z
      - .offset:         104
        .size:           2
        .value_kind:     hidden_grid_dims
    .group_segment_fixed_size: 0
    .kernarg_segment_align: 8
    .kernarg_segment_size: 296
    .language:       OpenCL C
    .language_version:
      - 2
      - 0
    .max_flat_workgroup_size: 1024
    .name:           _ZN9rocsolver6v33100L9copymatA1IfPfEEviiT0_iilPT_
    .private_segment_fixed_size: 0
    .sgpr_count:     24
    .sgpr_spill_count: 0
    .symbol:         _ZN9rocsolver6v33100L9copymatA1IfPfEEviiT0_iilPT_.kd
    .uniform_work_group_size: 1
    .uses_dynamic_stack: false
    .vgpr_count:     6
    .vgpr_spill_count: 0
    .wavefront_size: 64
  - .agpr_count:     0
    .args:
      - .offset:         0
        .size:           4
        .value_kind:     by_value
      - .offset:         4
        .size:           4
        .value_kind:     by_value
      - .address_space:  global
        .offset:         8
        .size:           8
        .value_kind:     global_buffer
      - .offset:         16
        .size:           4
        .value_kind:     by_value
      - .offset:         20
        .size:           4
        .value_kind:     by_value
      - .offset:         24
        .size:           8
        .value_kind:     by_value
      - .address_space:  global
        .offset:         32
        .size:           8
        .value_kind:     global_buffer
      - .offset:         40
        .size:           4
        .value_kind:     hidden_block_count_x
      - .offset:         44
        .size:           4
        .value_kind:     hidden_block_count_y
      - .offset:         48
        .size:           4
        .value_kind:     hidden_block_count_z
      - .offset:         52
        .size:           2
        .value_kind:     hidden_group_size_x
      - .offset:         54
        .size:           2
        .value_kind:     hidden_group_size_y
      - .offset:         56
        .size:           2
        .value_kind:     hidden_group_size_z
      - .offset:         58
        .size:           2
        .value_kind:     hidden_remainder_x
      - .offset:         60
        .size:           2
        .value_kind:     hidden_remainder_y
      - .offset:         62
        .size:           2
        .value_kind:     hidden_remainder_z
      - .offset:         80
        .size:           8
        .value_kind:     hidden_global_offset_x
      - .offset:         88
        .size:           8
        .value_kind:     hidden_global_offset_y
      - .offset:         96
        .size:           8
        .value_kind:     hidden_global_offset_z
      - .offset:         104
        .size:           2
        .value_kind:     hidden_grid_dims
    .group_segment_fixed_size: 0
    .kernarg_segment_align: 8
    .kernarg_segment_size: 296
    .language:       OpenCL C
    .language_version:
      - 2
      - 0
    .max_flat_workgroup_size: 1024
    .name:           _ZN9rocsolver6v33100L8addmatA1IfPfEEviiT0_iilPT_
    .private_segment_fixed_size: 0
    .sgpr_count:     19
    .sgpr_spill_count: 0
    .symbol:         _ZN9rocsolver6v33100L8addmatA1IfPfEEviiT0_iilPT_.kd
    .uniform_work_group_size: 1
    .uses_dynamic_stack: false
    .vgpr_count:     6
    .vgpr_spill_count: 0
    .wavefront_size: 64
  - .agpr_count:     0
    .args:
      - .offset:         0
        .size:           1
        .value_kind:     by_value
      - .offset:         4
        .size:           4
        .value_kind:     by_value
      - .address_space:  global
        .offset:         8
        .size:           8
        .value_kind:     global_buffer
      - .offset:         16
        .size:           4
        .value_kind:     by_value
      - .offset:         20
        .size:           4
        .value_kind:     by_value
      - .offset:         24
        .size:           8
        .value_kind:     by_value
      - .address_space:  global
        .offset:         32
        .size:           8
        .value_kind:     global_buffer
      - .offset:         40
        .size:           4
        .value_kind:     by_value
      - .offset:         44
        .size:           4
        .value_kind:     by_value
      - .offset:         48
        .size:           8
        .value_kind:     by_value
      - .offset:         56
        .size:           4
        .value_kind:     hidden_block_count_x
      - .offset:         60
        .size:           4
        .value_kind:     hidden_block_count_y
      - .offset:         64
        .size:           4
        .value_kind:     hidden_block_count_z
      - .offset:         68
        .size:           2
        .value_kind:     hidden_group_size_x
      - .offset:         70
        .size:           2
        .value_kind:     hidden_group_size_y
      - .offset:         72
        .size:           2
        .value_kind:     hidden_group_size_z
      - .offset:         74
        .size:           2
        .value_kind:     hidden_remainder_x
      - .offset:         76
        .size:           2
        .value_kind:     hidden_remainder_y
      - .offset:         78
        .size:           2
        .value_kind:     hidden_remainder_z
      - .offset:         96
        .size:           8
        .value_kind:     hidden_global_offset_x
      - .offset:         104
        .size:           8
        .value_kind:     hidden_global_offset_y
      - .offset:         112
        .size:           8
        .value_kind:     hidden_global_offset_z
      - .offset:         120
        .size:           2
        .value_kind:     hidden_grid_dims
    .group_segment_fixed_size: 0
    .kernarg_segment_align: 8
    .kernarg_segment_size: 312
    .language:       OpenCL C
    .language_version:
      - 2
      - 0
    .max_flat_workgroup_size: 1024
    .name:           _ZN9rocsolver6v33100L15copyshift_rightIfPfEEvbiT0_iilPT_iil
    .private_segment_fixed_size: 0
    .sgpr_count:     24
    .sgpr_spill_count: 0
    .symbol:         _ZN9rocsolver6v33100L15copyshift_rightIfPfEEvbiT0_iilPT_iil.kd
    .uniform_work_group_size: 1
    .uses_dynamic_stack: false
    .vgpr_count:     8
    .vgpr_spill_count: 0
    .wavefront_size: 64
  - .agpr_count:     0
    .args:
      - .offset:         0
        .size:           4
        .value_kind:     by_value
      - .offset:         4
        .size:           4
        .value_kind:     by_value
      - .offset:         8
        .size:           4
        .value_kind:     by_value
      - .address_space:  global
        .offset:         16
        .size:           8
        .value_kind:     global_buffer
      - .offset:         24
        .size:           4
        .value_kind:     by_value
      - .offset:         28
        .size:           4
        .value_kind:     by_value
      - .offset:         32
        .size:           8
        .value_kind:     by_value
      - .offset:         40
        .size:           4
        .value_kind:     hidden_block_count_x
      - .offset:         44
        .size:           4
        .value_kind:     hidden_block_count_y
      - .offset:         48
        .size:           4
        .value_kind:     hidden_block_count_z
      - .offset:         52
        .size:           2
        .value_kind:     hidden_group_size_x
      - .offset:         54
        .size:           2
        .value_kind:     hidden_group_size_y
      - .offset:         56
        .size:           2
        .value_kind:     hidden_group_size_z
      - .offset:         58
        .size:           2
        .value_kind:     hidden_remainder_x
      - .offset:         60
        .size:           2
        .value_kind:     hidden_remainder_y
      - .offset:         62
        .size:           2
        .value_kind:     hidden_remainder_z
      - .offset:         80
        .size:           8
        .value_kind:     hidden_global_offset_x
      - .offset:         88
        .size:           8
        .value_kind:     hidden_global_offset_y
      - .offset:         96
        .size:           8
        .value_kind:     hidden_global_offset_z
      - .offset:         104
        .size:           2
        .value_kind:     hidden_grid_dims
    .group_segment_fixed_size: 0
    .kernarg_segment_align: 8
    .kernarg_segment_size: 296
    .language:       OpenCL C
    .language_version:
      - 2
      - 0
    .max_flat_workgroup_size: 1024
    .name:           _ZN9rocsolver6v33100L16orgl2_init_identIfPfEEviiiT0_iil
    .private_segment_fixed_size: 0
    .sgpr_count:     20
    .sgpr_spill_count: 0
    .symbol:         _ZN9rocsolver6v33100L16orgl2_init_identIfPfEEviiiT0_iil.kd
    .uniform_work_group_size: 1
    .uses_dynamic_stack: false
    .vgpr_count:     6
    .vgpr_spill_count: 0
    .wavefront_size: 64
  - .agpr_count:     0
    .args:
      - .offset:         0
        .size:           1
        .value_kind:     by_value
      - .offset:         4
        .size:           4
        .value_kind:     by_value
      - .address_space:  global
        .offset:         8
        .size:           8
        .value_kind:     global_buffer
      - .offset:         16
        .size:           4
        .value_kind:     by_value
      - .offset:         20
        .size:           4
        .value_kind:     by_value
      - .offset:         24
        .size:           8
        .value_kind:     by_value
      - .address_space:  global
        .offset:         32
        .size:           8
        .value_kind:     global_buffer
      - .offset:         40
        .size:           4
        .value_kind:     by_value
      - .offset:         44
        .size:           4
        .value_kind:     by_value
      - .offset:         48
        .size:           8
        .value_kind:     by_value
      - .offset:         56
        .size:           4
        .value_kind:     hidden_block_count_x
      - .offset:         60
        .size:           4
        .value_kind:     hidden_block_count_y
      - .offset:         64
        .size:           4
        .value_kind:     hidden_block_count_z
      - .offset:         68
        .size:           2
        .value_kind:     hidden_group_size_x
      - .offset:         70
        .size:           2
        .value_kind:     hidden_group_size_y
      - .offset:         72
        .size:           2
        .value_kind:     hidden_group_size_z
      - .offset:         74
        .size:           2
        .value_kind:     hidden_remainder_x
      - .offset:         76
        .size:           2
        .value_kind:     hidden_remainder_y
      - .offset:         78
        .size:           2
        .value_kind:     hidden_remainder_z
      - .offset:         96
        .size:           8
        .value_kind:     hidden_global_offset_x
      - .offset:         104
        .size:           8
        .value_kind:     hidden_global_offset_y
      - .offset:         112
        .size:           8
        .value_kind:     hidden_global_offset_z
      - .offset:         120
        .size:           2
        .value_kind:     hidden_grid_dims
    .group_segment_fixed_size: 0
    .kernarg_segment_align: 8
    .kernarg_segment_size: 312
    .language:       OpenCL C
    .language_version:
      - 2
      - 0
    .max_flat_workgroup_size: 1024
    .name:           _ZN9rocsolver6v33100L14copyshift_downIfPfEEvbiT0_iilPT_iil
    .private_segment_fixed_size: 0
    .sgpr_count:     22
    .sgpr_spill_count: 0
    .symbol:         _ZN9rocsolver6v33100L14copyshift_downIfPfEEvbiT0_iilPT_iil.kd
    .uniform_work_group_size: 1
    .uses_dynamic_stack: false
    .vgpr_count:     10
    .vgpr_spill_count: 0
    .wavefront_size: 64
  - .agpr_count:     0
    .args:
      - .address_space:  global
        .offset:         0
        .size:           8
        .value_kind:     global_buffer
      - .offset:         8
        .size:           4
        .value_kind:     by_value
      - .offset:         16
        .size:           8
        .value_kind:     by_value
    .group_segment_fixed_size: 0
    .kernarg_segment_align: 8
    .kernarg_segment_size: 24
    .language:       OpenCL C
    .language_version:
      - 2
      - 0
    .max_flat_workgroup_size: 32
    .name:           _ZN9rocsolver6v33100L6iota_nIdEEvPT_jS2_
    .private_segment_fixed_size: 0
    .sgpr_count:     10
    .sgpr_spill_count: 0
    .symbol:         _ZN9rocsolver6v33100L6iota_nIdEEvPT_jS2_.kd
    .uniform_work_group_size: 1
    .uses_dynamic_stack: false
    .vgpr_count:     3
    .vgpr_spill_count: 0
    .wavefront_size: 64
  - .agpr_count:     0
    .args:
      - .offset:         0
        .size:           4
        .value_kind:     by_value
      - .offset:         4
        .size:           4
        .value_kind:     by_value
      - .offset:         8
        .size:           4
        .value_kind:     by_value
      - .address_space:  global
        .offset:         16
        .size:           8
        .value_kind:     global_buffer
      - .offset:         24
        .size:           4
        .value_kind:     by_value
      - .offset:         28
        .size:           4
        .value_kind:     by_value
      - .offset:         32
        .size:           8
        .value_kind:     by_value
      - .offset:         40
        .size:           4
        .value_kind:     hidden_block_count_x
      - .offset:         44
        .size:           4
        .value_kind:     hidden_block_count_y
      - .offset:         48
        .size:           4
        .value_kind:     hidden_block_count_z
      - .offset:         52
        .size:           2
        .value_kind:     hidden_group_size_x
      - .offset:         54
        .size:           2
        .value_kind:     hidden_group_size_y
      - .offset:         56
        .size:           2
        .value_kind:     hidden_group_size_z
      - .offset:         58
        .size:           2
        .value_kind:     hidden_remainder_x
      - .offset:         60
        .size:           2
        .value_kind:     hidden_remainder_y
      - .offset:         62
        .size:           2
        .value_kind:     hidden_remainder_z
      - .offset:         80
        .size:           8
        .value_kind:     hidden_global_offset_x
      - .offset:         88
        .size:           8
        .value_kind:     hidden_global_offset_y
      - .offset:         96
        .size:           8
        .value_kind:     hidden_global_offset_z
      - .offset:         104
        .size:           2
        .value_kind:     hidden_grid_dims
    .group_segment_fixed_size: 0
    .kernarg_segment_align: 8
    .kernarg_segment_size: 296
    .language:       OpenCL C
    .language_version:
      - 2
      - 0
    .max_flat_workgroup_size: 1024
    .name:           _ZN9rocsolver6v33100L16org2r_init_identIdPdEEviiiT0_iil
    .private_segment_fixed_size: 0
    .sgpr_count:     20
    .sgpr_spill_count: 0
    .symbol:         _ZN9rocsolver6v33100L16org2r_init_identIdPdEEviiiT0_iil.kd
    .uniform_work_group_size: 1
    .uses_dynamic_stack: false
    .vgpr_count:     8
    .vgpr_spill_count: 0
    .wavefront_size: 64
  - .agpr_count:     0
    .args:
      - .offset:         0
        .size:           4
        .value_kind:     by_value
      - .offset:         4
        .size:           4
        .value_kind:     by_value
      - .address_space:  global
        .offset:         8
        .size:           8
        .value_kind:     global_buffer
      - .offset:         16
        .size:           8
        .value_kind:     by_value
      - .offset:         24
        .size:           4
        .value_kind:     by_value
      - .offset:         32
        .size:           8
        .value_kind:     by_value
      - .address_space:  global
        .offset:         40
        .size:           8
        .value_kind:     global_buffer
      - .offset:         48
        .size:           8
        .value_kind:     by_value
      - .address_space:  global
        .offset:         56
        .size:           8
        .value_kind:     global_buffer
      - .offset:         64
        .size:           8
        .value_kind:     by_value
      - .offset:         72
        .size:           4
        .value_kind:     by_value
      - .offset:         80
        .size:           8
        .value_kind:     by_value
    .group_segment_fixed_size: 0
    .kernarg_segment_align: 8
    .kernarg_segment_size: 88
    .language:       OpenCL C
    .language_version:
      - 2
      - 0
    .max_flat_workgroup_size: 1024
    .name:           _ZN9rocsolver6v33100L16larf_left_kernelILi1024EdiPdEEvT1_S3_T2_lS3_lPKT0_lS4_lS3_l
    .private_segment_fixed_size: 0
    .sgpr_count:     40
    .sgpr_spill_count: 0
    .symbol:         _ZN9rocsolver6v33100L16larf_left_kernelILi1024EdiPdEEvT1_S3_T2_lS3_lPKT0_lS4_lS3_l.kd
    .uniform_work_group_size: 1
    .uses_dynamic_stack: false
    .vgpr_count:     20
    .vgpr_spill_count: 0
    .wavefront_size: 64
  - .agpr_count:     0
    .args:
      - .offset:         0
        .size:           4
        .value_kind:     by_value
      - .offset:         4
        .size:           4
        .value_kind:     by_value
      - .address_space:  global
        .offset:         8
        .size:           8
        .value_kind:     global_buffer
      - .offset:         16
        .size:           8
        .value_kind:     by_value
      - .offset:         24
        .size:           4
        .value_kind:     by_value
      - .offset:         32
        .size:           8
        .value_kind:     by_value
      - .address_space:  global
        .offset:         40
        .size:           8
        .value_kind:     global_buffer
      - .offset:         48
        .size:           8
        .value_kind:     by_value
      - .address_space:  global
        .offset:         56
        .size:           8
        .value_kind:     global_buffer
      - .offset:         64
        .size:           8
        .value_kind:     by_value
      - .offset:         72
        .size:           4
        .value_kind:     by_value
      - .offset:         80
        .size:           8
        .value_kind:     by_value
    .group_segment_fixed_size: 0
    .kernarg_segment_align: 8
    .kernarg_segment_size: 88
    .language:       OpenCL C
    .language_version:
      - 2
      - 0
    .max_flat_workgroup_size: 1024
    .name:           _ZN9rocsolver6v33100L17larf_right_kernelILi1024EdiPdEEvT1_S3_T2_lS3_lPKT0_lS4_lS3_l
    .private_segment_fixed_size: 0
    .sgpr_count:     40
    .sgpr_spill_count: 0
    .symbol:         _ZN9rocsolver6v33100L17larf_right_kernelILi1024EdiPdEEvT1_S3_T2_lS3_lPKT0_lS4_lS3_l.kd
    .uniform_work_group_size: 1
    .uses_dynamic_stack: false
    .vgpr_count:     21
    .vgpr_spill_count: 0
    .wavefront_size: 64
  - .agpr_count:     0
    .args:
      - .offset:         0
        .size:           4
        .value_kind:     by_value
      - .offset:         4
        .size:           4
        .value_kind:     by_value
      - .address_space:  global
        .offset:         8
        .size:           8
        .value_kind:     global_buffer
      - .offset:         16
        .size:           4
        .value_kind:     by_value
      - .offset:         20
        .size:           4
        .value_kind:     by_value
      - .offset:         24
        .size:           8
        .value_kind:     by_value
      - .address_space:  global
        .offset:         32
        .size:           8
        .value_kind:     global_buffer
      - .offset:         40
        .size:           8
        .value_kind:     by_value
    .group_segment_fixed_size: 0
    .kernarg_segment_align: 8
    .kernarg_segment_size: 48
    .language:       OpenCL C
    .language_version:
      - 2
      - 0
    .max_flat_workgroup_size: 1024
    .name:           _ZN9rocsolver6v33100L12subtract_tauIdPdEEviiT0_iilPT_l
    .private_segment_fixed_size: 0
    .sgpr_count:     20
    .sgpr_spill_count: 0
    .symbol:         _ZN9rocsolver6v33100L12subtract_tauIdPdEEviiT0_iilPT_l.kd
    .uniform_work_group_size: 1
    .uses_dynamic_stack: false
    .vgpr_count:     3
    .vgpr_spill_count: 0
    .wavefront_size: 64
  - .agpr_count:     0
    .args:
      - .offset:         0
        .size:           4
        .value_kind:     by_value
      - .address_space:  global
        .offset:         8
        .size:           8
        .value_kind:     global_buffer
      - .offset:         16
        .size:           8
        .value_kind:     by_value
      - .offset:         24
        .size:           4
        .value_kind:     hidden_block_count_x
      - .offset:         28
        .size:           4
        .value_kind:     hidden_block_count_y
      - .offset:         32
        .size:           4
        .value_kind:     hidden_block_count_z
      - .offset:         36
        .size:           2
        .value_kind:     hidden_group_size_x
      - .offset:         38
        .size:           2
        .value_kind:     hidden_group_size_y
      - .offset:         40
        .size:           2
        .value_kind:     hidden_group_size_z
      - .offset:         42
        .size:           2
        .value_kind:     hidden_remainder_x
      - .offset:         44
        .size:           2
        .value_kind:     hidden_remainder_y
      - .offset:         46
        .size:           2
        .value_kind:     hidden_remainder_z
      - .offset:         64
        .size:           8
        .value_kind:     hidden_global_offset_x
      - .offset:         72
        .size:           8
        .value_kind:     hidden_global_offset_y
      - .offset:         80
        .size:           8
        .value_kind:     hidden_global_offset_z
      - .offset:         88
        .size:           2
        .value_kind:     hidden_grid_dims
    .group_segment_fixed_size: 0
    .kernarg_segment_align: 8
    .kernarg_segment_size: 280
    .language:       OpenCL C
    .language_version:
      - 2
      - 0
    .max_flat_workgroup_size: 1024
    .name:           _ZN9rocsolver6v33100L6restauIdEEviPT_l
    .private_segment_fixed_size: 0
    .sgpr_count:     12
    .sgpr_spill_count: 0
    .symbol:         _ZN9rocsolver6v33100L6restauIdEEviPT_l.kd
    .uniform_work_group_size: 1
    .uses_dynamic_stack: false
    .vgpr_count:     4
    .vgpr_spill_count: 0
    .wavefront_size: 64
  - .agpr_count:     0
    .args:
      - .offset:         0
        .size:           4
        .value_kind:     by_value
      - .offset:         4
        .size:           4
        .value_kind:     by_value
      - .address_space:  global
        .offset:         8
        .size:           8
        .value_kind:     global_buffer
      - .offset:         16
        .size:           4
        .value_kind:     by_value
      - .offset:         20
        .size:           4
        .value_kind:     by_value
      - .offset:         24
        .size:           8
        .value_kind:     by_value
      - .offset:         32
        .size:           4
        .value_kind:     by_value
      - .offset:         40
        .size:           4
        .value_kind:     hidden_block_count_x
      - .offset:         44
        .size:           4
        .value_kind:     hidden_block_count_y
      - .offset:         48
        .size:           4
        .value_kind:     hidden_block_count_z
      - .offset:         52
        .size:           2
        .value_kind:     hidden_group_size_x
      - .offset:         54
        .size:           2
        .value_kind:     hidden_group_size_y
      - .offset:         56
        .size:           2
        .value_kind:     hidden_group_size_z
      - .offset:         58
        .size:           2
        .value_kind:     hidden_remainder_x
      - .offset:         60
        .size:           2
        .value_kind:     hidden_remainder_y
      - .offset:         62
        .size:           2
        .value_kind:     hidden_remainder_z
      - .offset:         80
        .size:           8
        .value_kind:     hidden_global_offset_x
      - .offset:         88
        .size:           8
        .value_kind:     hidden_global_offset_y
      - .offset:         96
        .size:           8
        .value_kind:     hidden_global_offset_z
      - .offset:         104
        .size:           2
        .value_kind:     hidden_grid_dims
    .group_segment_fixed_size: 0
    .kernarg_segment_align: 8
    .kernarg_segment_size: 296
    .language:       OpenCL C
    .language_version:
      - 2
      - 0
    .max_flat_workgroup_size: 1024
    .name:           _ZN9rocsolver6v33100L8set_zeroIdPdEEviiT0_iil13rocblas_fill_
    .private_segment_fixed_size: 0
    .sgpr_count:     13
    .sgpr_spill_count: 0
    .symbol:         _ZN9rocsolver6v33100L8set_zeroIdPdEEviiT0_iil13rocblas_fill_.kd
    .uniform_work_group_size: 1
    .uses_dynamic_stack: false
    .vgpr_count:     4
    .vgpr_spill_count: 0
    .wavefront_size: 64
  - .agpr_count:     0
    .args:
      - .offset:         0
        .size:           4
        .value_kind:     by_value
      - .offset:         4
        .size:           4
        .value_kind:     by_value
      - .address_space:  global
        .offset:         8
        .size:           8
        .value_kind:     global_buffer
      - .offset:         16
        .size:           4
        .value_kind:     by_value
      - .offset:         20
        .size:           4
        .value_kind:     by_value
      - .offset:         24
        .size:           8
        .value_kind:     by_value
      - .address_space:  global
        .offset:         32
        .size:           8
        .value_kind:     global_buffer
      - .offset:         40
        .size:           8
        .value_kind:     by_value
      - .address_space:  global
        .offset:         48
        .size:           8
        .value_kind:     global_buffer
      - .offset:         56
        .size:           4
        .value_kind:     by_value
      - .offset:         64
        .size:           8
        .value_kind:     by_value
      - .offset:         72
        .size:           4
        .value_kind:     by_value
      - .offset:         76
        .size:           4
        .value_kind:     by_value
      - .offset:         80
        .size:           1
        .value_kind:     by_value
      - .offset:         88
        .size:           4
        .value_kind:     hidden_block_count_x
      - .offset:         92
        .size:           4
        .value_kind:     hidden_block_count_y
      - .offset:         96
        .size:           4
        .value_kind:     hidden_block_count_z
      - .offset:         100
        .size:           2
        .value_kind:     hidden_group_size_x
      - .offset:         102
        .size:           2
        .value_kind:     hidden_group_size_y
      - .offset:         104
        .size:           2
        .value_kind:     hidden_group_size_z
      - .offset:         106
        .size:           2
        .value_kind:     hidden_remainder_x
      - .offset:         108
        .size:           2
        .value_kind:     hidden_remainder_y
      - .offset:         110
        .size:           2
        .value_kind:     hidden_remainder_z
      - .offset:         128
        .size:           8
        .value_kind:     hidden_global_offset_x
      - .offset:         136
        .size:           8
        .value_kind:     hidden_global_offset_y
      - .offset:         144
        .size:           8
        .value_kind:     hidden_global_offset_z
      - .offset:         152
        .size:           2
        .value_kind:     hidden_grid_dims
    .group_segment_fixed_size: 0
    .kernarg_segment_align: 8
    .kernarg_segment_size: 344
    .language:       OpenCL C
    .language_version:
      - 2
      - 0
    .max_flat_workgroup_size: 1024
    .name:           _ZN9rocsolver6v33100L14set_triangularIdPdTnNSt9enable_ifIXnt18rocblas_is_complexIT_EEiE4typeELi0EEEviiT0_iilPS4_lS8_il15rocblas_direct_15rocblas_storev_b
    .private_segment_fixed_size: 0
    .sgpr_count:     27
    .sgpr_spill_count: 0
    .symbol:         _ZN9rocsolver6v33100L14set_triangularIdPdTnNSt9enable_ifIXnt18rocblas_is_complexIT_EEiE4typeELi0EEEviiT0_iilPS4_lS8_il15rocblas_direct_15rocblas_storev_b.kd
    .uniform_work_group_size: 1
    .uses_dynamic_stack: false
    .vgpr_count:     18
    .vgpr_spill_count: 0
    .wavefront_size: 64
  - .agpr_count:     0
    .args:
      - .offset:         0
        .size:           4
        .value_kind:     by_value
      - .address_space:  global
        .offset:         8
        .size:           8
        .value_kind:     global_buffer
      - .offset:         16
        .size:           8
        .value_kind:     by_value
      - .offset:         24
        .size:           4
        .value_kind:     hidden_block_count_x
      - .offset:         28
        .size:           4
        .value_kind:     hidden_block_count_y
      - .offset:         32
        .size:           4
        .value_kind:     hidden_block_count_z
      - .offset:         36
        .size:           2
        .value_kind:     hidden_group_size_x
      - .offset:         38
        .size:           2
        .value_kind:     hidden_group_size_y
      - .offset:         40
        .size:           2
        .value_kind:     hidden_group_size_z
      - .offset:         42
        .size:           2
        .value_kind:     hidden_remainder_x
      - .offset:         44
        .size:           2
        .value_kind:     hidden_remainder_y
      - .offset:         46
        .size:           2
        .value_kind:     hidden_remainder_z
      - .offset:         64
        .size:           8
        .value_kind:     hidden_global_offset_x
      - .offset:         72
        .size:           8
        .value_kind:     hidden_global_offset_y
      - .offset:         80
        .size:           8
        .value_kind:     hidden_global_offset_z
      - .offset:         88
        .size:           2
        .value_kind:     hidden_grid_dims
    .group_segment_fixed_size: 0
    .kernarg_segment_align: 8
    .kernarg_segment_size: 280
    .language:       OpenCL C
    .language_version:
      - 2
      - 0
    .max_flat_workgroup_size: 1024
    .name:           _ZN9rocsolver6v33100L7set_tauIdEEviPT_l
    .private_segment_fixed_size: 0
    .sgpr_count:     12
    .sgpr_spill_count: 0
    .symbol:         _ZN9rocsolver6v33100L7set_tauIdEEviPT_l.kd
    .uniform_work_group_size: 1
    .uses_dynamic_stack: false
    .vgpr_count:     4
    .vgpr_spill_count: 0
    .wavefront_size: 64
  - .agpr_count:     0
    .args:
      - .offset:         0
        .size:           4
        .value_kind:     by_value
      - .offset:         4
        .size:           4
        .value_kind:     by_value
      - .offset:         8
        .size:           4
        .value_kind:     by_value
      - .address_space:  global
        .offset:         16
        .size:           8
        .value_kind:     global_buffer
      - .offset:         24
        .size:           4
        .value_kind:     by_value
      - .offset:         28
        .size:           4
        .value_kind:     by_value
      - .offset:         32
        .size:           8
        .value_kind:     by_value
      - .address_space:  global
        .offset:         40
        .size:           8
        .value_kind:     global_buffer
      - .offset:         48
        .size:           8
        .value_kind:     by_value
      - .address_space:  global
        .offset:         56
        .size:           8
        .value_kind:     global_buffer
      - .offset:         64
        .size:           4
        .value_kind:     by_value
      - .offset:         72
        .size:           8
        .value_kind:     by_value
      - .offset:         80
        .size:           4
        .value_kind:     hidden_block_count_x
      - .offset:         84
        .size:           4
        .value_kind:     hidden_block_count_y
      - .offset:         88
        .size:           4
        .value_kind:     hidden_block_count_z
      - .offset:         92
        .size:           2
        .value_kind:     hidden_group_size_x
      - .offset:         94
        .size:           2
        .value_kind:     hidden_group_size_y
      - .offset:         96
        .size:           2
        .value_kind:     hidden_group_size_z
      - .offset:         98
        .size:           2
        .value_kind:     hidden_remainder_x
      - .offset:         100
        .size:           2
        .value_kind:     hidden_remainder_y
      - .offset:         102
        .size:           2
        .value_kind:     hidden_remainder_z
      - .offset:         120
        .size:           8
        .value_kind:     hidden_global_offset_x
      - .offset:         128
        .size:           8
        .value_kind:     hidden_global_offset_y
      - .offset:         136
        .size:           8
        .value_kind:     hidden_global_offset_z
      - .offset:         144
        .size:           2
        .value_kind:     hidden_grid_dims
      - .offset:         200
        .size:           4
        .value_kind:     hidden_dynamic_lds_size
    .group_segment_fixed_size: 0
    .kernarg_segment_align: 8
    .kernarg_segment_size: 336
    .language:       OpenCL C
    .language_version:
      - 2
      - 0
    .max_flat_workgroup_size: 1024
    .name:           _ZN9rocsolver6v33100L20larft_kernel_forwardIdPdEEv15rocblas_storev_iiT0_iilPT_lS6_il
    .private_segment_fixed_size: 0
    .sgpr_count:     54
    .sgpr_spill_count: 0
    .symbol:         _ZN9rocsolver6v33100L20larft_kernel_forwardIdPdEEv15rocblas_storev_iiT0_iilPT_lS6_il.kd
    .uniform_work_group_size: 1
    .uses_dynamic_stack: false
    .vgpr_count:     20
    .vgpr_spill_count: 0
    .wavefront_size: 64
  - .agpr_count:     0
    .args:
      - .offset:         0
        .size:           4
        .value_kind:     by_value
      - .offset:         4
        .size:           4
        .value_kind:     by_value
      - .address_space:  global
        .offset:         8
        .size:           8
        .value_kind:     global_buffer
      - .offset:         16
        .size:           8
        .value_kind:     by_value
      - .offset:         24
        .size:           4
        .value_kind:     by_value
      - .offset:         32
        .size:           8
        .value_kind:     by_value
    .group_segment_fixed_size: 0
    .kernarg_segment_align: 8
    .kernarg_segment_size: 40
    .language:       OpenCL C
    .language_version:
      - 2
      - 0
    .max_flat_workgroup_size: 1024
    .name:           _ZN9rocsolver6v33100L13conj_in_placeIdiPdTnNSt9enable_ifIXnt18rocblas_is_complexIT_EEiE4typeELi0EEEvT0_S7_T1_lS7_l
    .private_segment_fixed_size: 0
    .sgpr_count:     4
    .sgpr_spill_count: 0
    .symbol:         _ZN9rocsolver6v33100L13conj_in_placeIdiPdTnNSt9enable_ifIXnt18rocblas_is_complexIT_EEiE4typeELi0EEEvT0_S7_T1_lS7_l.kd
    .uniform_work_group_size: 1
    .uses_dynamic_stack: false
    .vgpr_count:     0
    .vgpr_spill_count: 0
    .wavefront_size: 64
  - .agpr_count:     0
    .args:
      - .offset:         0
        .size:           4
        .value_kind:     by_value
      - .offset:         4
        .size:           4
        .value_kind:     by_value
      - .offset:         8
        .size:           4
        .value_kind:     by_value
      - .address_space:  global
        .offset:         16
        .size:           8
        .value_kind:     global_buffer
      - .offset:         24
        .size:           4
        .value_kind:     by_value
      - .offset:         28
        .size:           4
        .value_kind:     by_value
      - .offset:         32
        .size:           8
        .value_kind:     by_value
      - .address_space:  global
        .offset:         40
        .size:           8
        .value_kind:     global_buffer
      - .offset:         48
        .size:           8
        .value_kind:     by_value
      - .address_space:  global
        .offset:         56
        .size:           8
        .value_kind:     global_buffer
      - .offset:         64
        .size:           4
        .value_kind:     by_value
      - .offset:         72
        .size:           8
        .value_kind:     by_value
      - .offset:         80
        .size:           4
        .value_kind:     hidden_block_count_x
      - .offset:         84
        .size:           4
        .value_kind:     hidden_block_count_y
      - .offset:         88
        .size:           4
        .value_kind:     hidden_block_count_z
      - .offset:         92
        .size:           2
        .value_kind:     hidden_group_size_x
      - .offset:         94
        .size:           2
        .value_kind:     hidden_group_size_y
      - .offset:         96
        .size:           2
        .value_kind:     hidden_group_size_z
      - .offset:         98
        .size:           2
        .value_kind:     hidden_remainder_x
      - .offset:         100
        .size:           2
        .value_kind:     hidden_remainder_y
      - .offset:         102
        .size:           2
        .value_kind:     hidden_remainder_z
      - .offset:         120
        .size:           8
        .value_kind:     hidden_global_offset_x
      - .offset:         128
        .size:           8
        .value_kind:     hidden_global_offset_y
      - .offset:         136
        .size:           8
        .value_kind:     hidden_global_offset_z
      - .offset:         144
        .size:           2
        .value_kind:     hidden_grid_dims
      - .offset:         200
        .size:           4
        .value_kind:     hidden_dynamic_lds_size
    .group_segment_fixed_size: 0
    .kernarg_segment_align: 8
    .kernarg_segment_size: 336
    .language:       OpenCL C
    .language_version:
      - 2
      - 0
    .max_flat_workgroup_size: 1024
    .name:           _ZN9rocsolver6v33100L21larft_kernel_backwardIdPdEEv15rocblas_storev_iiT0_iilPT_lS6_il
    .private_segment_fixed_size: 0
    .sgpr_count:     56
    .sgpr_spill_count: 0
    .symbol:         _ZN9rocsolver6v33100L21larft_kernel_backwardIdPdEEv15rocblas_storev_iiT0_iilPT_lS6_il.kd
    .uniform_work_group_size: 1
    .uses_dynamic_stack: false
    .vgpr_count:     16
    .vgpr_spill_count: 0
    .wavefront_size: 64
  - .agpr_count:     0
    .args:
      - .offset:         0
        .size:           4
        .value_kind:     by_value
      - .offset:         4
        .size:           4
        .value_kind:     by_value
      - .address_space:  global
        .offset:         8
        .size:           8
        .value_kind:     global_buffer
      - .offset:         16
        .size:           4
        .value_kind:     by_value
      - .offset:         20
        .size:           4
        .value_kind:     by_value
      - .offset:         24
        .size:           8
        .value_kind:     by_value
      - .address_space:  global
        .offset:         32
        .size:           8
        .value_kind:     global_buffer
      - .offset:         40
        .size:           4
        .value_kind:     hidden_block_count_x
      - .offset:         44
        .size:           4
        .value_kind:     hidden_block_count_y
      - .offset:         48
        .size:           4
        .value_kind:     hidden_block_count_z
      - .offset:         52
        .size:           2
        .value_kind:     hidden_group_size_x
      - .offset:         54
        .size:           2
        .value_kind:     hidden_group_size_y
      - .offset:         56
        .size:           2
        .value_kind:     hidden_group_size_z
      - .offset:         58
        .size:           2
        .value_kind:     hidden_remainder_x
      - .offset:         60
        .size:           2
        .value_kind:     hidden_remainder_y
      - .offset:         62
        .size:           2
        .value_kind:     hidden_remainder_z
      - .offset:         80
        .size:           8
        .value_kind:     hidden_global_offset_x
      - .offset:         88
        .size:           8
        .value_kind:     hidden_global_offset_y
      - .offset:         96
        .size:           8
        .value_kind:     hidden_global_offset_z
      - .offset:         104
        .size:           2
        .value_kind:     hidden_grid_dims
    .group_segment_fixed_size: 0
    .kernarg_segment_align: 8
    .kernarg_segment_size: 296
    .language:       OpenCL C
    .language_version:
      - 2
      - 0
    .max_flat_workgroup_size: 1024
    .name:           _ZN9rocsolver6v33100L9copymatA1IdPdEEviiT0_iilPT_
    .private_segment_fixed_size: 0
    .sgpr_count:     24
    .sgpr_spill_count: 0
    .symbol:         _ZN9rocsolver6v33100L9copymatA1IdPdEEviiT0_iilPT_.kd
    .uniform_work_group_size: 1
    .uses_dynamic_stack: false
    .vgpr_count:     6
    .vgpr_spill_count: 0
    .wavefront_size: 64
  - .agpr_count:     0
    .args:
      - .offset:         0
        .size:           4
        .value_kind:     by_value
      - .offset:         4
        .size:           4
        .value_kind:     by_value
      - .address_space:  global
        .offset:         8
        .size:           8
        .value_kind:     global_buffer
      - .offset:         16
        .size:           4
        .value_kind:     by_value
      - .offset:         20
        .size:           4
        .value_kind:     by_value
      - .offset:         24
        .size:           8
        .value_kind:     by_value
      - .address_space:  global
        .offset:         32
        .size:           8
        .value_kind:     global_buffer
      - .offset:         40
        .size:           4
        .value_kind:     hidden_block_count_x
      - .offset:         44
        .size:           4
        .value_kind:     hidden_block_count_y
      - .offset:         48
        .size:           4
        .value_kind:     hidden_block_count_z
      - .offset:         52
        .size:           2
        .value_kind:     hidden_group_size_x
      - .offset:         54
        .size:           2
        .value_kind:     hidden_group_size_y
      - .offset:         56
        .size:           2
        .value_kind:     hidden_group_size_z
      - .offset:         58
        .size:           2
        .value_kind:     hidden_remainder_x
      - .offset:         60
        .size:           2
        .value_kind:     hidden_remainder_y
      - .offset:         62
        .size:           2
        .value_kind:     hidden_remainder_z
      - .offset:         80
        .size:           8
        .value_kind:     hidden_global_offset_x
      - .offset:         88
        .size:           8
        .value_kind:     hidden_global_offset_y
      - .offset:         96
        .size:           8
        .value_kind:     hidden_global_offset_z
      - .offset:         104
        .size:           2
        .value_kind:     hidden_grid_dims
    .group_segment_fixed_size: 0
    .kernarg_segment_align: 8
    .kernarg_segment_size: 296
    .language:       OpenCL C
    .language_version:
      - 2
      - 0
    .max_flat_workgroup_size: 1024
    .name:           _ZN9rocsolver6v33100L8addmatA1IdPdEEviiT0_iilPT_
    .private_segment_fixed_size: 0
    .sgpr_count:     19
    .sgpr_spill_count: 0
    .symbol:         _ZN9rocsolver6v33100L8addmatA1IdPdEEviiT0_iilPT_.kd
    .uniform_work_group_size: 1
    .uses_dynamic_stack: false
    .vgpr_count:     6
    .vgpr_spill_count: 0
    .wavefront_size: 64
  - .agpr_count:     0
    .args:
      - .offset:         0
        .size:           1
        .value_kind:     by_value
      - .offset:         4
        .size:           4
        .value_kind:     by_value
      - .address_space:  global
        .offset:         8
        .size:           8
        .value_kind:     global_buffer
      - .offset:         16
        .size:           4
        .value_kind:     by_value
      - .offset:         20
        .size:           4
        .value_kind:     by_value
      - .offset:         24
        .size:           8
        .value_kind:     by_value
      - .address_space:  global
        .offset:         32
        .size:           8
        .value_kind:     global_buffer
      - .offset:         40
        .size:           4
        .value_kind:     by_value
      - .offset:         44
        .size:           4
        .value_kind:     by_value
      - .offset:         48
        .size:           8
        .value_kind:     by_value
      - .offset:         56
        .size:           4
        .value_kind:     hidden_block_count_x
      - .offset:         60
        .size:           4
        .value_kind:     hidden_block_count_y
      - .offset:         64
        .size:           4
        .value_kind:     hidden_block_count_z
      - .offset:         68
        .size:           2
        .value_kind:     hidden_group_size_x
      - .offset:         70
        .size:           2
        .value_kind:     hidden_group_size_y
      - .offset:         72
        .size:           2
        .value_kind:     hidden_group_size_z
      - .offset:         74
        .size:           2
        .value_kind:     hidden_remainder_x
      - .offset:         76
        .size:           2
        .value_kind:     hidden_remainder_y
      - .offset:         78
        .size:           2
        .value_kind:     hidden_remainder_z
      - .offset:         96
        .size:           8
        .value_kind:     hidden_global_offset_x
      - .offset:         104
        .size:           8
        .value_kind:     hidden_global_offset_y
      - .offset:         112
        .size:           8
        .value_kind:     hidden_global_offset_z
      - .offset:         120
        .size:           2
        .value_kind:     hidden_grid_dims
    .group_segment_fixed_size: 0
    .kernarg_segment_align: 8
    .kernarg_segment_size: 312
    .language:       OpenCL C
    .language_version:
      - 2
      - 0
    .max_flat_workgroup_size: 1024
    .name:           _ZN9rocsolver6v33100L15copyshift_rightIdPdEEvbiT0_iilPT_iil
    .private_segment_fixed_size: 0
    .sgpr_count:     24
    .sgpr_spill_count: 0
    .symbol:         _ZN9rocsolver6v33100L15copyshift_rightIdPdEEvbiT0_iilPT_iil.kd
    .uniform_work_group_size: 1
    .uses_dynamic_stack: false
    .vgpr_count:     9
    .vgpr_spill_count: 0
    .wavefront_size: 64
  - .agpr_count:     0
    .args:
      - .offset:         0
        .size:           4
        .value_kind:     by_value
      - .offset:         4
        .size:           4
        .value_kind:     by_value
      - .offset:         8
        .size:           4
        .value_kind:     by_value
      - .address_space:  global
        .offset:         16
        .size:           8
        .value_kind:     global_buffer
      - .offset:         24
        .size:           4
        .value_kind:     by_value
      - .offset:         28
        .size:           4
        .value_kind:     by_value
      - .offset:         32
        .size:           8
        .value_kind:     by_value
      - .offset:         40
        .size:           4
        .value_kind:     hidden_block_count_x
      - .offset:         44
        .size:           4
        .value_kind:     hidden_block_count_y
      - .offset:         48
        .size:           4
        .value_kind:     hidden_block_count_z
      - .offset:         52
        .size:           2
        .value_kind:     hidden_group_size_x
      - .offset:         54
        .size:           2
        .value_kind:     hidden_group_size_y
      - .offset:         56
        .size:           2
        .value_kind:     hidden_group_size_z
      - .offset:         58
        .size:           2
        .value_kind:     hidden_remainder_x
      - .offset:         60
        .size:           2
        .value_kind:     hidden_remainder_y
      - .offset:         62
        .size:           2
        .value_kind:     hidden_remainder_z
      - .offset:         80
        .size:           8
        .value_kind:     hidden_global_offset_x
      - .offset:         88
        .size:           8
        .value_kind:     hidden_global_offset_y
      - .offset:         96
        .size:           8
        .value_kind:     hidden_global_offset_z
      - .offset:         104
        .size:           2
        .value_kind:     hidden_grid_dims
    .group_segment_fixed_size: 0
    .kernarg_segment_align: 8
    .kernarg_segment_size: 296
    .language:       OpenCL C
    .language_version:
      - 2
      - 0
    .max_flat_workgroup_size: 1024
    .name:           _ZN9rocsolver6v33100L16orgl2_init_identIdPdEEviiiT0_iil
    .private_segment_fixed_size: 0
    .sgpr_count:     20
    .sgpr_spill_count: 0
    .symbol:         _ZN9rocsolver6v33100L16orgl2_init_identIdPdEEviiiT0_iil.kd
    .uniform_work_group_size: 1
    .uses_dynamic_stack: false
    .vgpr_count:     8
    .vgpr_spill_count: 0
    .wavefront_size: 64
  - .agpr_count:     0
    .args:
      - .offset:         0
        .size:           1
        .value_kind:     by_value
      - .offset:         4
        .size:           4
        .value_kind:     by_value
      - .address_space:  global
        .offset:         8
        .size:           8
        .value_kind:     global_buffer
      - .offset:         16
        .size:           4
        .value_kind:     by_value
      - .offset:         20
        .size:           4
        .value_kind:     by_value
      - .offset:         24
        .size:           8
        .value_kind:     by_value
      - .address_space:  global
        .offset:         32
        .size:           8
        .value_kind:     global_buffer
      - .offset:         40
        .size:           4
        .value_kind:     by_value
      - .offset:         44
        .size:           4
        .value_kind:     by_value
      - .offset:         48
        .size:           8
        .value_kind:     by_value
      - .offset:         56
        .size:           4
        .value_kind:     hidden_block_count_x
      - .offset:         60
        .size:           4
        .value_kind:     hidden_block_count_y
      - .offset:         64
        .size:           4
        .value_kind:     hidden_block_count_z
      - .offset:         68
        .size:           2
        .value_kind:     hidden_group_size_x
      - .offset:         70
        .size:           2
        .value_kind:     hidden_group_size_y
      - .offset:         72
        .size:           2
        .value_kind:     hidden_group_size_z
      - .offset:         74
        .size:           2
        .value_kind:     hidden_remainder_x
      - .offset:         76
        .size:           2
        .value_kind:     hidden_remainder_y
      - .offset:         78
        .size:           2
        .value_kind:     hidden_remainder_z
      - .offset:         96
        .size:           8
        .value_kind:     hidden_global_offset_x
      - .offset:         104
        .size:           8
        .value_kind:     hidden_global_offset_y
      - .offset:         112
        .size:           8
        .value_kind:     hidden_global_offset_z
      - .offset:         120
        .size:           2
        .value_kind:     hidden_grid_dims
    .group_segment_fixed_size: 0
    .kernarg_segment_align: 8
    .kernarg_segment_size: 312
    .language:       OpenCL C
    .language_version:
      - 2
      - 0
    .max_flat_workgroup_size: 1024
    .name:           _ZN9rocsolver6v33100L14copyshift_downIdPdEEvbiT0_iilPT_iil
    .private_segment_fixed_size: 0
    .sgpr_count:     22
    .sgpr_spill_count: 0
    .symbol:         _ZN9rocsolver6v33100L14copyshift_downIdPdEEvbiT0_iilPT_iil.kd
    .uniform_work_group_size: 1
    .uses_dynamic_stack: false
    .vgpr_count:     11
    .vgpr_spill_count: 0
    .wavefront_size: 64
  - .agpr_count:     0
    .args:
      - .address_space:  global
        .offset:         0
        .size:           8
        .value_kind:     global_buffer
      - .offset:         8
        .size:           4
        .value_kind:     by_value
      - .offset:         12
        .size:           8
        .value_kind:     by_value
    .group_segment_fixed_size: 0
    .kernarg_segment_align: 8
    .kernarg_segment_size: 20
    .language:       OpenCL C
    .language_version:
      - 2
      - 0
    .max_flat_workgroup_size: 32
    .name:           _ZN9rocsolver6v33100L6iota_nI19rocblas_complex_numIfEEEvPT_jS4_
    .private_segment_fixed_size: 0
    .sgpr_count:     10
    .sgpr_spill_count: 0
    .symbol:         _ZN9rocsolver6v33100L6iota_nI19rocblas_complex_numIfEEEvPT_jS4_.kd
    .uniform_work_group_size: 1
    .uses_dynamic_stack: false
    .vgpr_count:     5
    .vgpr_spill_count: 0
    .wavefront_size: 64
  - .agpr_count:     0
    .args:
      - .offset:         0
        .size:           4
        .value_kind:     by_value
      - .offset:         4
        .size:           4
        .value_kind:     by_value
      - .offset:         8
        .size:           4
        .value_kind:     by_value
      - .address_space:  global
        .offset:         16
        .size:           8
        .value_kind:     global_buffer
      - .offset:         24
        .size:           4
        .value_kind:     by_value
      - .offset:         28
        .size:           4
        .value_kind:     by_value
      - .offset:         32
        .size:           8
        .value_kind:     by_value
      - .offset:         40
        .size:           4
        .value_kind:     hidden_block_count_x
      - .offset:         44
        .size:           4
        .value_kind:     hidden_block_count_y
      - .offset:         48
        .size:           4
        .value_kind:     hidden_block_count_z
      - .offset:         52
        .size:           2
        .value_kind:     hidden_group_size_x
      - .offset:         54
        .size:           2
        .value_kind:     hidden_group_size_y
      - .offset:         56
        .size:           2
        .value_kind:     hidden_group_size_z
      - .offset:         58
        .size:           2
        .value_kind:     hidden_remainder_x
      - .offset:         60
        .size:           2
        .value_kind:     hidden_remainder_y
      - .offset:         62
        .size:           2
        .value_kind:     hidden_remainder_z
      - .offset:         80
        .size:           8
        .value_kind:     hidden_global_offset_x
      - .offset:         88
        .size:           8
        .value_kind:     hidden_global_offset_y
      - .offset:         96
        .size:           8
        .value_kind:     hidden_global_offset_z
      - .offset:         104
        .size:           2
        .value_kind:     hidden_grid_dims
    .group_segment_fixed_size: 0
    .kernarg_segment_align: 8
    .kernarg_segment_size: 296
    .language:       OpenCL C
    .language_version:
      - 2
      - 0
    .max_flat_workgroup_size: 1024
    .name:           _ZN9rocsolver6v33100L16org2r_init_identI19rocblas_complex_numIfEPS3_EEviiiT0_iil
    .private_segment_fixed_size: 0
    .sgpr_count:     20
    .sgpr_spill_count: 0
    .symbol:         _ZN9rocsolver6v33100L16org2r_init_identI19rocblas_complex_numIfEPS3_EEviiiT0_iil.kd
    .uniform_work_group_size: 1
    .uses_dynamic_stack: false
    .vgpr_count:     6
    .vgpr_spill_count: 0
    .wavefront_size: 64
  - .agpr_count:     0
    .args:
      - .offset:         0
        .size:           4
        .value_kind:     by_value
      - .offset:         4
        .size:           4
        .value_kind:     by_value
      - .address_space:  global
        .offset:         8
        .size:           8
        .value_kind:     global_buffer
      - .offset:         16
        .size:           8
        .value_kind:     by_value
      - .offset:         24
        .size:           4
        .value_kind:     by_value
      - .offset:         32
        .size:           8
        .value_kind:     by_value
      - .address_space:  global
        .offset:         40
        .size:           8
        .value_kind:     global_buffer
      - .offset:         48
        .size:           8
        .value_kind:     by_value
      - .address_space:  global
        .offset:         56
        .size:           8
        .value_kind:     global_buffer
      - .offset:         64
        .size:           8
        .value_kind:     by_value
      - .offset:         72
        .size:           4
        .value_kind:     by_value
      - .offset:         80
        .size:           8
        .value_kind:     by_value
    .group_segment_fixed_size: 0
    .kernarg_segment_align: 8
    .kernarg_segment_size: 88
    .language:       OpenCL C
    .language_version:
      - 2
      - 0
    .max_flat_workgroup_size: 1024
    .name:           _ZN9rocsolver6v33100L16larf_left_kernelILi1024E19rocblas_complex_numIfEiPS3_EEvT1_S5_T2_lS5_lPKT0_lS6_lS5_l
    .private_segment_fixed_size: 0
    .sgpr_count:     36
    .sgpr_spill_count: 0
    .symbol:         _ZN9rocsolver6v33100L16larf_left_kernelILi1024E19rocblas_complex_numIfEiPS3_EEvT1_S5_T2_lS5_lPKT0_lS6_lS5_l.kd
    .uniform_work_group_size: 1
    .uses_dynamic_stack: false
    .vgpr_count:     30
    .vgpr_spill_count: 0
    .wavefront_size: 64
  - .agpr_count:     0
    .args:
      - .offset:         0
        .size:           4
        .value_kind:     by_value
      - .offset:         4
        .size:           4
        .value_kind:     by_value
      - .address_space:  global
        .offset:         8
        .size:           8
        .value_kind:     global_buffer
      - .offset:         16
        .size:           8
        .value_kind:     by_value
      - .offset:         24
        .size:           4
        .value_kind:     by_value
      - .offset:         32
        .size:           8
        .value_kind:     by_value
      - .address_space:  global
        .offset:         40
        .size:           8
        .value_kind:     global_buffer
      - .offset:         48
        .size:           8
        .value_kind:     by_value
      - .address_space:  global
        .offset:         56
        .size:           8
        .value_kind:     global_buffer
      - .offset:         64
        .size:           8
        .value_kind:     by_value
      - .offset:         72
        .size:           4
        .value_kind:     by_value
      - .offset:         80
        .size:           8
        .value_kind:     by_value
    .group_segment_fixed_size: 0
    .kernarg_segment_align: 8
    .kernarg_segment_size: 88
    .language:       OpenCL C
    .language_version:
      - 2
      - 0
    .max_flat_workgroup_size: 1024
    .name:           _ZN9rocsolver6v33100L17larf_right_kernelILi1024E19rocblas_complex_numIfEiPS3_EEvT1_S5_T2_lS5_lPKT0_lS6_lS5_l
    .private_segment_fixed_size: 0
    .sgpr_count:     40
    .sgpr_spill_count: 0
    .symbol:         _ZN9rocsolver6v33100L17larf_right_kernelILi1024E19rocblas_complex_numIfEiPS3_EEvT1_S5_T2_lS5_lPKT0_lS6_lS5_l.kd
    .uniform_work_group_size: 1
    .uses_dynamic_stack: false
    .vgpr_count:     21
    .vgpr_spill_count: 0
    .wavefront_size: 64
  - .agpr_count:     0
    .args:
      - .offset:         0
        .size:           4
        .value_kind:     by_value
      - .offset:         4
        .size:           4
        .value_kind:     by_value
      - .address_space:  global
        .offset:         8
        .size:           8
        .value_kind:     global_buffer
      - .offset:         16
        .size:           4
        .value_kind:     by_value
      - .offset:         20
        .size:           4
        .value_kind:     by_value
      - .offset:         24
        .size:           8
        .value_kind:     by_value
      - .address_space:  global
        .offset:         32
        .size:           8
        .value_kind:     global_buffer
      - .offset:         40
        .size:           8
        .value_kind:     by_value
    .group_segment_fixed_size: 0
    .kernarg_segment_align: 8
    .kernarg_segment_size: 48
    .language:       OpenCL C
    .language_version:
      - 2
      - 0
    .max_flat_workgroup_size: 1024
    .name:           _ZN9rocsolver6v33100L12subtract_tauI19rocblas_complex_numIfEPS3_EEviiT0_iilPT_l
    .private_segment_fixed_size: 0
    .sgpr_count:     20
    .sgpr_spill_count: 0
    .symbol:         _ZN9rocsolver6v33100L12subtract_tauI19rocblas_complex_numIfEPS3_EEviiT0_iilPT_l.kd
    .uniform_work_group_size: 1
    .uses_dynamic_stack: false
    .vgpr_count:     3
    .vgpr_spill_count: 0
    .wavefront_size: 64
  - .agpr_count:     0
    .args:
      - .offset:         0
        .size:           4
        .value_kind:     by_value
      - .address_space:  global
        .offset:         8
        .size:           8
        .value_kind:     global_buffer
      - .offset:         16
        .size:           8
        .value_kind:     by_value
      - .offset:         24
        .size:           4
        .value_kind:     hidden_block_count_x
      - .offset:         28
        .size:           4
        .value_kind:     hidden_block_count_y
      - .offset:         32
        .size:           4
        .value_kind:     hidden_block_count_z
      - .offset:         36
        .size:           2
        .value_kind:     hidden_group_size_x
      - .offset:         38
        .size:           2
        .value_kind:     hidden_group_size_y
      - .offset:         40
        .size:           2
        .value_kind:     hidden_group_size_z
      - .offset:         42
        .size:           2
        .value_kind:     hidden_remainder_x
      - .offset:         44
        .size:           2
        .value_kind:     hidden_remainder_y
      - .offset:         46
        .size:           2
        .value_kind:     hidden_remainder_z
      - .offset:         64
        .size:           8
        .value_kind:     hidden_global_offset_x
      - .offset:         72
        .size:           8
        .value_kind:     hidden_global_offset_y
      - .offset:         80
        .size:           8
        .value_kind:     hidden_global_offset_z
      - .offset:         88
        .size:           2
        .value_kind:     hidden_grid_dims
    .group_segment_fixed_size: 0
    .kernarg_segment_align: 8
    .kernarg_segment_size: 280
    .language:       OpenCL C
    .language_version:
      - 2
      - 0
    .max_flat_workgroup_size: 1024
    .name:           _ZN9rocsolver6v33100L6restauI19rocblas_complex_numIfEEEviPT_l
    .private_segment_fixed_size: 0
    .sgpr_count:     12
    .sgpr_spill_count: 0
    .symbol:         _ZN9rocsolver6v33100L6restauI19rocblas_complex_numIfEEEviPT_l.kd
    .uniform_work_group_size: 1
    .uses_dynamic_stack: false
    .vgpr_count:     4
    .vgpr_spill_count: 0
    .wavefront_size: 64
  - .agpr_count:     0
    .args:
      - .offset:         0
        .size:           4
        .value_kind:     by_value
      - .offset:         4
        .size:           4
        .value_kind:     by_value
      - .address_space:  global
        .offset:         8
        .size:           8
        .value_kind:     global_buffer
      - .offset:         16
        .size:           4
        .value_kind:     by_value
      - .offset:         20
        .size:           4
        .value_kind:     by_value
      - .offset:         24
        .size:           8
        .value_kind:     by_value
      - .offset:         32
        .size:           4
        .value_kind:     by_value
      - .offset:         40
        .size:           4
        .value_kind:     hidden_block_count_x
      - .offset:         44
        .size:           4
        .value_kind:     hidden_block_count_y
      - .offset:         48
        .size:           4
        .value_kind:     hidden_block_count_z
      - .offset:         52
        .size:           2
        .value_kind:     hidden_group_size_x
      - .offset:         54
        .size:           2
        .value_kind:     hidden_group_size_y
      - .offset:         56
        .size:           2
        .value_kind:     hidden_group_size_z
      - .offset:         58
        .size:           2
        .value_kind:     hidden_remainder_x
      - .offset:         60
        .size:           2
        .value_kind:     hidden_remainder_y
      - .offset:         62
        .size:           2
        .value_kind:     hidden_remainder_z
      - .offset:         80
        .size:           8
        .value_kind:     hidden_global_offset_x
      - .offset:         88
        .size:           8
        .value_kind:     hidden_global_offset_y
      - .offset:         96
        .size:           8
        .value_kind:     hidden_global_offset_z
      - .offset:         104
        .size:           2
        .value_kind:     hidden_grid_dims
    .group_segment_fixed_size: 0
    .kernarg_segment_align: 8
    .kernarg_segment_size: 296
    .language:       OpenCL C
    .language_version:
      - 2
      - 0
    .max_flat_workgroup_size: 1024
    .name:           _ZN9rocsolver6v33100L8set_zeroI19rocblas_complex_numIfEPS3_EEviiT0_iil13rocblas_fill_
    .private_segment_fixed_size: 0
    .sgpr_count:     13
    .sgpr_spill_count: 0
    .symbol:         _ZN9rocsolver6v33100L8set_zeroI19rocblas_complex_numIfEPS3_EEviiT0_iil13rocblas_fill_.kd
    .uniform_work_group_size: 1
    .uses_dynamic_stack: false
    .vgpr_count:     4
    .vgpr_spill_count: 0
    .wavefront_size: 64
  - .agpr_count:     0
    .args:
      - .offset:         0
        .size:           4
        .value_kind:     by_value
      - .offset:         4
        .size:           4
        .value_kind:     by_value
      - .address_space:  global
        .offset:         8
        .size:           8
        .value_kind:     global_buffer
      - .offset:         16
        .size:           4
        .value_kind:     by_value
      - .offset:         20
        .size:           4
        .value_kind:     by_value
      - .offset:         24
        .size:           8
        .value_kind:     by_value
      - .address_space:  global
        .offset:         32
        .size:           8
        .value_kind:     global_buffer
      - .offset:         40
        .size:           8
        .value_kind:     by_value
      - .address_space:  global
        .offset:         48
        .size:           8
        .value_kind:     global_buffer
      - .offset:         56
        .size:           4
        .value_kind:     by_value
      - .offset:         64
        .size:           8
        .value_kind:     by_value
      - .offset:         72
        .size:           4
        .value_kind:     by_value
      - .offset:         76
        .size:           4
        .value_kind:     by_value
      - .offset:         80
        .size:           1
        .value_kind:     by_value
      - .offset:         88
        .size:           4
        .value_kind:     hidden_block_count_x
      - .offset:         92
        .size:           4
        .value_kind:     hidden_block_count_y
      - .offset:         96
        .size:           4
        .value_kind:     hidden_block_count_z
      - .offset:         100
        .size:           2
        .value_kind:     hidden_group_size_x
      - .offset:         102
        .size:           2
        .value_kind:     hidden_group_size_y
      - .offset:         104
        .size:           2
        .value_kind:     hidden_group_size_z
      - .offset:         106
        .size:           2
        .value_kind:     hidden_remainder_x
      - .offset:         108
        .size:           2
        .value_kind:     hidden_remainder_y
      - .offset:         110
        .size:           2
        .value_kind:     hidden_remainder_z
      - .offset:         128
        .size:           8
        .value_kind:     hidden_global_offset_x
      - .offset:         136
        .size:           8
        .value_kind:     hidden_global_offset_y
      - .offset:         144
        .size:           8
        .value_kind:     hidden_global_offset_z
      - .offset:         152
        .size:           2
        .value_kind:     hidden_grid_dims
    .group_segment_fixed_size: 0
    .kernarg_segment_align: 8
    .kernarg_segment_size: 344
    .language:       OpenCL C
    .language_version:
      - 2
      - 0
    .max_flat_workgroup_size: 1024
    .name:           _ZN9rocsolver6v33100L14set_triangularI19rocblas_complex_numIfEPS3_TnNSt9enable_ifIX18rocblas_is_complexIT_EEiE4typeELi0EEEviiT0_iilPS6_lSA_il15rocblas_direct_15rocblas_storev_b
    .private_segment_fixed_size: 0
    .sgpr_count:     27
    .sgpr_spill_count: 0
    .symbol:         _ZN9rocsolver6v33100L14set_triangularI19rocblas_complex_numIfEPS3_TnNSt9enable_ifIX18rocblas_is_complexIT_EEiE4typeELi0EEEviiT0_iilPS6_lSA_il15rocblas_direct_15rocblas_storev_b.kd
    .uniform_work_group_size: 1
    .uses_dynamic_stack: false
    .vgpr_count:     18
    .vgpr_spill_count: 0
    .wavefront_size: 64
  - .agpr_count:     0
    .args:
      - .offset:         0
        .size:           4
        .value_kind:     by_value
      - .address_space:  global
        .offset:         8
        .size:           8
        .value_kind:     global_buffer
      - .offset:         16
        .size:           8
        .value_kind:     by_value
      - .offset:         24
        .size:           4
        .value_kind:     hidden_block_count_x
      - .offset:         28
        .size:           4
        .value_kind:     hidden_block_count_y
      - .offset:         32
        .size:           4
        .value_kind:     hidden_block_count_z
      - .offset:         36
        .size:           2
        .value_kind:     hidden_group_size_x
      - .offset:         38
        .size:           2
        .value_kind:     hidden_group_size_y
      - .offset:         40
        .size:           2
        .value_kind:     hidden_group_size_z
      - .offset:         42
        .size:           2
        .value_kind:     hidden_remainder_x
      - .offset:         44
        .size:           2
        .value_kind:     hidden_remainder_y
      - .offset:         46
        .size:           2
        .value_kind:     hidden_remainder_z
      - .offset:         64
        .size:           8
        .value_kind:     hidden_global_offset_x
      - .offset:         72
        .size:           8
        .value_kind:     hidden_global_offset_y
      - .offset:         80
        .size:           8
        .value_kind:     hidden_global_offset_z
      - .offset:         88
        .size:           2
        .value_kind:     hidden_grid_dims
    .group_segment_fixed_size: 0
    .kernarg_segment_align: 8
    .kernarg_segment_size: 280
    .language:       OpenCL C
    .language_version:
      - 2
      - 0
    .max_flat_workgroup_size: 1024
    .name:           _ZN9rocsolver6v33100L7set_tauI19rocblas_complex_numIfEEEviPT_l
    .private_segment_fixed_size: 0
    .sgpr_count:     12
    .sgpr_spill_count: 0
    .symbol:         _ZN9rocsolver6v33100L7set_tauI19rocblas_complex_numIfEEEviPT_l.kd
    .uniform_work_group_size: 1
    .uses_dynamic_stack: false
    .vgpr_count:     4
    .vgpr_spill_count: 0
    .wavefront_size: 64
  - .agpr_count:     0
    .args:
      - .offset:         0
        .size:           4
        .value_kind:     by_value
      - .offset:         4
        .size:           4
        .value_kind:     by_value
      - .offset:         8
        .size:           4
        .value_kind:     by_value
      - .address_space:  global
        .offset:         16
        .size:           8
        .value_kind:     global_buffer
      - .offset:         24
        .size:           4
        .value_kind:     by_value
      - .offset:         28
        .size:           4
        .value_kind:     by_value
      - .offset:         32
        .size:           8
        .value_kind:     by_value
      - .address_space:  global
        .offset:         40
        .size:           8
        .value_kind:     global_buffer
      - .offset:         48
        .size:           8
        .value_kind:     by_value
      - .address_space:  global
        .offset:         56
        .size:           8
        .value_kind:     global_buffer
      - .offset:         64
        .size:           4
        .value_kind:     by_value
      - .offset:         72
        .size:           8
        .value_kind:     by_value
      - .offset:         80
        .size:           4
        .value_kind:     hidden_block_count_x
      - .offset:         84
        .size:           4
        .value_kind:     hidden_block_count_y
      - .offset:         88
        .size:           4
        .value_kind:     hidden_block_count_z
      - .offset:         92
        .size:           2
        .value_kind:     hidden_group_size_x
      - .offset:         94
        .size:           2
        .value_kind:     hidden_group_size_y
      - .offset:         96
        .size:           2
        .value_kind:     hidden_group_size_z
      - .offset:         98
        .size:           2
        .value_kind:     hidden_remainder_x
      - .offset:         100
        .size:           2
        .value_kind:     hidden_remainder_y
      - .offset:         102
        .size:           2
        .value_kind:     hidden_remainder_z
      - .offset:         120
        .size:           8
        .value_kind:     hidden_global_offset_x
      - .offset:         128
        .size:           8
        .value_kind:     hidden_global_offset_y
      - .offset:         136
        .size:           8
        .value_kind:     hidden_global_offset_z
      - .offset:         144
        .size:           2
        .value_kind:     hidden_grid_dims
      - .offset:         200
        .size:           4
        .value_kind:     hidden_dynamic_lds_size
    .group_segment_fixed_size: 0
    .kernarg_segment_align: 8
    .kernarg_segment_size: 336
    .language:       OpenCL C
    .language_version:
      - 2
      - 0
    .max_flat_workgroup_size: 1024
    .name:           _ZN9rocsolver6v33100L20larft_kernel_forwardI19rocblas_complex_numIfEPS3_EEv15rocblas_storev_iiT0_iilPT_lS8_il
    .private_segment_fixed_size: 0
    .sgpr_count:     56
    .sgpr_spill_count: 0
    .symbol:         _ZN9rocsolver6v33100L20larft_kernel_forwardI19rocblas_complex_numIfEPS3_EEv15rocblas_storev_iiT0_iilPT_lS8_il.kd
    .uniform_work_group_size: 1
    .uses_dynamic_stack: false
    .vgpr_count:     24
    .vgpr_spill_count: 0
    .wavefront_size: 64
  - .agpr_count:     0
    .args:
      - .offset:         0
        .size:           4
        .value_kind:     by_value
      - .offset:         4
        .size:           4
        .value_kind:     by_value
      - .address_space:  global
        .offset:         8
        .size:           8
        .value_kind:     global_buffer
      - .offset:         16
        .size:           8
        .value_kind:     by_value
      - .offset:         24
        .size:           4
        .value_kind:     by_value
      - .offset:         32
        .size:           8
        .value_kind:     by_value
      - .offset:         40
        .size:           4
        .value_kind:     hidden_block_count_x
      - .offset:         44
        .size:           4
        .value_kind:     hidden_block_count_y
      - .offset:         48
        .size:           4
        .value_kind:     hidden_block_count_z
      - .offset:         52
        .size:           2
        .value_kind:     hidden_group_size_x
      - .offset:         54
        .size:           2
        .value_kind:     hidden_group_size_y
      - .offset:         56
        .size:           2
        .value_kind:     hidden_group_size_z
      - .offset:         58
        .size:           2
        .value_kind:     hidden_remainder_x
      - .offset:         60
        .size:           2
        .value_kind:     hidden_remainder_y
      - .offset:         62
        .size:           2
        .value_kind:     hidden_remainder_z
      - .offset:         80
        .size:           8
        .value_kind:     hidden_global_offset_x
      - .offset:         88
        .size:           8
        .value_kind:     hidden_global_offset_y
      - .offset:         96
        .size:           8
        .value_kind:     hidden_global_offset_z
      - .offset:         104
        .size:           2
        .value_kind:     hidden_grid_dims
    .group_segment_fixed_size: 0
    .kernarg_segment_align: 8
    .kernarg_segment_size: 296
    .language:       OpenCL C
    .language_version:
      - 2
      - 0
    .max_flat_workgroup_size: 1024
    .name:           _ZN9rocsolver6v33100L13conj_in_placeI19rocblas_complex_numIfEiPS3_TnNSt9enable_ifIX18rocblas_is_complexIT_EEiE4typeELi0EEEvT0_S9_T1_lS9_l
    .private_segment_fixed_size: 0
    .sgpr_count:     14
    .sgpr_spill_count: 0
    .symbol:         _ZN9rocsolver6v33100L13conj_in_placeI19rocblas_complex_numIfEiPS3_TnNSt9enable_ifIX18rocblas_is_complexIT_EEiE4typeELi0EEEvT0_S9_T1_lS9_l.kd
    .uniform_work_group_size: 1
    .uses_dynamic_stack: false
    .vgpr_count:     7
    .vgpr_spill_count: 0
    .wavefront_size: 64
  - .agpr_count:     0
    .args:
      - .offset:         0
        .size:           4
        .value_kind:     by_value
      - .offset:         4
        .size:           4
        .value_kind:     by_value
      - .offset:         8
        .size:           4
        .value_kind:     by_value
      - .address_space:  global
        .offset:         16
        .size:           8
        .value_kind:     global_buffer
      - .offset:         24
        .size:           4
        .value_kind:     by_value
      - .offset:         28
        .size:           4
        .value_kind:     by_value
      - .offset:         32
        .size:           8
        .value_kind:     by_value
      - .address_space:  global
        .offset:         40
        .size:           8
        .value_kind:     global_buffer
      - .offset:         48
        .size:           8
        .value_kind:     by_value
      - .address_space:  global
        .offset:         56
        .size:           8
        .value_kind:     global_buffer
      - .offset:         64
        .size:           4
        .value_kind:     by_value
      - .offset:         72
        .size:           8
        .value_kind:     by_value
      - .offset:         80
        .size:           4
        .value_kind:     hidden_block_count_x
      - .offset:         84
        .size:           4
        .value_kind:     hidden_block_count_y
      - .offset:         88
        .size:           4
        .value_kind:     hidden_block_count_z
      - .offset:         92
        .size:           2
        .value_kind:     hidden_group_size_x
      - .offset:         94
        .size:           2
        .value_kind:     hidden_group_size_y
      - .offset:         96
        .size:           2
        .value_kind:     hidden_group_size_z
      - .offset:         98
        .size:           2
        .value_kind:     hidden_remainder_x
      - .offset:         100
        .size:           2
        .value_kind:     hidden_remainder_y
      - .offset:         102
        .size:           2
        .value_kind:     hidden_remainder_z
      - .offset:         120
        .size:           8
        .value_kind:     hidden_global_offset_x
      - .offset:         128
        .size:           8
        .value_kind:     hidden_global_offset_y
      - .offset:         136
        .size:           8
        .value_kind:     hidden_global_offset_z
      - .offset:         144
        .size:           2
        .value_kind:     hidden_grid_dims
      - .offset:         200
        .size:           4
        .value_kind:     hidden_dynamic_lds_size
    .group_segment_fixed_size: 0
    .kernarg_segment_align: 8
    .kernarg_segment_size: 336
    .language:       OpenCL C
    .language_version:
      - 2
      - 0
    .max_flat_workgroup_size: 1024
    .name:           _ZN9rocsolver6v33100L21larft_kernel_backwardI19rocblas_complex_numIfEPS3_EEv15rocblas_storev_iiT0_iilPT_lS8_il
    .private_segment_fixed_size: 0
    .sgpr_count:     60
    .sgpr_spill_count: 0
    .symbol:         _ZN9rocsolver6v33100L21larft_kernel_backwardI19rocblas_complex_numIfEPS3_EEv15rocblas_storev_iiT0_iilPT_lS8_il.kd
    .uniform_work_group_size: 1
    .uses_dynamic_stack: false
    .vgpr_count:     20
    .vgpr_spill_count: 0
    .wavefront_size: 64
  - .agpr_count:     0
    .args:
      - .offset:         0
        .size:           4
        .value_kind:     by_value
      - .offset:         4
        .size:           4
        .value_kind:     by_value
      - .address_space:  global
        .offset:         8
        .size:           8
        .value_kind:     global_buffer
      - .offset:         16
        .size:           4
        .value_kind:     by_value
      - .offset:         20
        .size:           4
        .value_kind:     by_value
      - .offset:         24
        .size:           8
        .value_kind:     by_value
      - .address_space:  global
        .offset:         32
        .size:           8
        .value_kind:     global_buffer
      - .offset:         40
        .size:           4
        .value_kind:     hidden_block_count_x
      - .offset:         44
        .size:           4
        .value_kind:     hidden_block_count_y
      - .offset:         48
        .size:           4
        .value_kind:     hidden_block_count_z
      - .offset:         52
        .size:           2
        .value_kind:     hidden_group_size_x
      - .offset:         54
        .size:           2
        .value_kind:     hidden_group_size_y
      - .offset:         56
        .size:           2
        .value_kind:     hidden_group_size_z
      - .offset:         58
        .size:           2
        .value_kind:     hidden_remainder_x
      - .offset:         60
        .size:           2
        .value_kind:     hidden_remainder_y
      - .offset:         62
        .size:           2
        .value_kind:     hidden_remainder_z
      - .offset:         80
        .size:           8
        .value_kind:     hidden_global_offset_x
      - .offset:         88
        .size:           8
        .value_kind:     hidden_global_offset_y
      - .offset:         96
        .size:           8
        .value_kind:     hidden_global_offset_z
      - .offset:         104
        .size:           2
        .value_kind:     hidden_grid_dims
    .group_segment_fixed_size: 0
    .kernarg_segment_align: 8
    .kernarg_segment_size: 296
    .language:       OpenCL C
    .language_version:
      - 2
      - 0
    .max_flat_workgroup_size: 1024
    .name:           _ZN9rocsolver6v33100L9copymatA1I19rocblas_complex_numIfEPS3_EEviiT0_iilPT_
    .private_segment_fixed_size: 0
    .sgpr_count:     24
    .sgpr_spill_count: 0
    .symbol:         _ZN9rocsolver6v33100L9copymatA1I19rocblas_complex_numIfEPS3_EEviiT0_iilPT_.kd
    .uniform_work_group_size: 1
    .uses_dynamic_stack: false
    .vgpr_count:     6
    .vgpr_spill_count: 0
    .wavefront_size: 64
  - .agpr_count:     0
    .args:
      - .offset:         0
        .size:           4
        .value_kind:     by_value
      - .offset:         4
        .size:           4
        .value_kind:     by_value
      - .address_space:  global
        .offset:         8
        .size:           8
        .value_kind:     global_buffer
      - .offset:         16
        .size:           4
        .value_kind:     by_value
      - .offset:         20
        .size:           4
        .value_kind:     by_value
      - .offset:         24
        .size:           8
        .value_kind:     by_value
      - .address_space:  global
        .offset:         32
        .size:           8
        .value_kind:     global_buffer
      - .offset:         40
        .size:           4
        .value_kind:     hidden_block_count_x
      - .offset:         44
        .size:           4
        .value_kind:     hidden_block_count_y
      - .offset:         48
        .size:           4
        .value_kind:     hidden_block_count_z
      - .offset:         52
        .size:           2
        .value_kind:     hidden_group_size_x
      - .offset:         54
        .size:           2
        .value_kind:     hidden_group_size_y
      - .offset:         56
        .size:           2
        .value_kind:     hidden_group_size_z
      - .offset:         58
        .size:           2
        .value_kind:     hidden_remainder_x
      - .offset:         60
        .size:           2
        .value_kind:     hidden_remainder_y
      - .offset:         62
        .size:           2
        .value_kind:     hidden_remainder_z
      - .offset:         80
        .size:           8
        .value_kind:     hidden_global_offset_x
      - .offset:         88
        .size:           8
        .value_kind:     hidden_global_offset_y
      - .offset:         96
        .size:           8
        .value_kind:     hidden_global_offset_z
      - .offset:         104
        .size:           2
        .value_kind:     hidden_grid_dims
    .group_segment_fixed_size: 0
    .kernarg_segment_align: 8
    .kernarg_segment_size: 296
    .language:       OpenCL C
    .language_version:
      - 2
      - 0
    .max_flat_workgroup_size: 1024
    .name:           _ZN9rocsolver6v33100L8addmatA1I19rocblas_complex_numIfEPS3_EEviiT0_iilPT_
    .private_segment_fixed_size: 0
    .sgpr_count:     19
    .sgpr_spill_count: 0
    .symbol:         _ZN9rocsolver6v33100L8addmatA1I19rocblas_complex_numIfEPS3_EEviiT0_iilPT_.kd
    .uniform_work_group_size: 1
    .uses_dynamic_stack: false
    .vgpr_count:     8
    .vgpr_spill_count: 0
    .wavefront_size: 64
  - .agpr_count:     0
    .args:
      - .offset:         0
        .size:           1
        .value_kind:     by_value
      - .offset:         4
        .size:           4
        .value_kind:     by_value
      - .address_space:  global
        .offset:         8
        .size:           8
        .value_kind:     global_buffer
      - .offset:         16
        .size:           4
        .value_kind:     by_value
      - .offset:         20
        .size:           4
        .value_kind:     by_value
      - .offset:         24
        .size:           8
        .value_kind:     by_value
      - .address_space:  global
        .offset:         32
        .size:           8
        .value_kind:     global_buffer
      - .offset:         40
        .size:           4
        .value_kind:     by_value
      - .offset:         44
        .size:           4
        .value_kind:     by_value
      - .offset:         48
        .size:           8
        .value_kind:     by_value
      - .offset:         56
        .size:           4
        .value_kind:     hidden_block_count_x
      - .offset:         60
        .size:           4
        .value_kind:     hidden_block_count_y
      - .offset:         64
        .size:           4
        .value_kind:     hidden_block_count_z
      - .offset:         68
        .size:           2
        .value_kind:     hidden_group_size_x
      - .offset:         70
        .size:           2
        .value_kind:     hidden_group_size_y
      - .offset:         72
        .size:           2
        .value_kind:     hidden_group_size_z
      - .offset:         74
        .size:           2
        .value_kind:     hidden_remainder_x
      - .offset:         76
        .size:           2
        .value_kind:     hidden_remainder_y
      - .offset:         78
        .size:           2
        .value_kind:     hidden_remainder_z
      - .offset:         96
        .size:           8
        .value_kind:     hidden_global_offset_x
      - .offset:         104
        .size:           8
        .value_kind:     hidden_global_offset_y
      - .offset:         112
        .size:           8
        .value_kind:     hidden_global_offset_z
      - .offset:         120
        .size:           2
        .value_kind:     hidden_grid_dims
    .group_segment_fixed_size: 0
    .kernarg_segment_align: 8
    .kernarg_segment_size: 312
    .language:       OpenCL C
    .language_version:
      - 2
      - 0
    .max_flat_workgroup_size: 1024
    .name:           _ZN9rocsolver6v33100L15copyshift_rightI19rocblas_complex_numIfEPS3_EEvbiT0_iilPT_iil
    .private_segment_fixed_size: 0
    .sgpr_count:     22
    .sgpr_spill_count: 0
    .symbol:         _ZN9rocsolver6v33100L15copyshift_rightI19rocblas_complex_numIfEPS3_EEvbiT0_iilPT_iil.kd
    .uniform_work_group_size: 1
    .uses_dynamic_stack: false
    .vgpr_count:     11
    .vgpr_spill_count: 0
    .wavefront_size: 64
  - .agpr_count:     0
    .args:
      - .offset:         0
        .size:           4
        .value_kind:     by_value
      - .offset:         4
        .size:           4
        .value_kind:     by_value
      - .offset:         8
        .size:           4
        .value_kind:     by_value
      - .address_space:  global
        .offset:         16
        .size:           8
        .value_kind:     global_buffer
      - .offset:         24
        .size:           4
        .value_kind:     by_value
      - .offset:         28
        .size:           4
        .value_kind:     by_value
      - .offset:         32
        .size:           8
        .value_kind:     by_value
      - .offset:         40
        .size:           4
        .value_kind:     hidden_block_count_x
      - .offset:         44
        .size:           4
        .value_kind:     hidden_block_count_y
      - .offset:         48
        .size:           4
        .value_kind:     hidden_block_count_z
      - .offset:         52
        .size:           2
        .value_kind:     hidden_group_size_x
      - .offset:         54
        .size:           2
        .value_kind:     hidden_group_size_y
      - .offset:         56
        .size:           2
        .value_kind:     hidden_group_size_z
      - .offset:         58
        .size:           2
        .value_kind:     hidden_remainder_x
      - .offset:         60
        .size:           2
        .value_kind:     hidden_remainder_y
      - .offset:         62
        .size:           2
        .value_kind:     hidden_remainder_z
      - .offset:         80
        .size:           8
        .value_kind:     hidden_global_offset_x
      - .offset:         88
        .size:           8
        .value_kind:     hidden_global_offset_y
      - .offset:         96
        .size:           8
        .value_kind:     hidden_global_offset_z
      - .offset:         104
        .size:           2
        .value_kind:     hidden_grid_dims
    .group_segment_fixed_size: 0
    .kernarg_segment_align: 8
    .kernarg_segment_size: 296
    .language:       OpenCL C
    .language_version:
      - 2
      - 0
    .max_flat_workgroup_size: 1024
    .name:           _ZN9rocsolver6v33100L16orgl2_init_identI19rocblas_complex_numIfEPS3_EEviiiT0_iil
    .private_segment_fixed_size: 0
    .sgpr_count:     20
    .sgpr_spill_count: 0
    .symbol:         _ZN9rocsolver6v33100L16orgl2_init_identI19rocblas_complex_numIfEPS3_EEviiiT0_iil.kd
    .uniform_work_group_size: 1
    .uses_dynamic_stack: false
    .vgpr_count:     6
    .vgpr_spill_count: 0
    .wavefront_size: 64
  - .agpr_count:     0
    .args:
      - .offset:         0
        .size:           1
        .value_kind:     by_value
      - .offset:         4
        .size:           4
        .value_kind:     by_value
      - .address_space:  global
        .offset:         8
        .size:           8
        .value_kind:     global_buffer
      - .offset:         16
        .size:           4
        .value_kind:     by_value
      - .offset:         20
        .size:           4
        .value_kind:     by_value
      - .offset:         24
        .size:           8
        .value_kind:     by_value
      - .address_space:  global
        .offset:         32
        .size:           8
        .value_kind:     global_buffer
      - .offset:         40
        .size:           4
        .value_kind:     by_value
      - .offset:         44
        .size:           4
        .value_kind:     by_value
      - .offset:         48
        .size:           8
        .value_kind:     by_value
      - .offset:         56
        .size:           4
        .value_kind:     hidden_block_count_x
      - .offset:         60
        .size:           4
        .value_kind:     hidden_block_count_y
      - .offset:         64
        .size:           4
        .value_kind:     hidden_block_count_z
      - .offset:         68
        .size:           2
        .value_kind:     hidden_group_size_x
      - .offset:         70
        .size:           2
        .value_kind:     hidden_group_size_y
      - .offset:         72
        .size:           2
        .value_kind:     hidden_group_size_z
      - .offset:         74
        .size:           2
        .value_kind:     hidden_remainder_x
      - .offset:         76
        .size:           2
        .value_kind:     hidden_remainder_y
      - .offset:         78
        .size:           2
        .value_kind:     hidden_remainder_z
      - .offset:         96
        .size:           8
        .value_kind:     hidden_global_offset_x
      - .offset:         104
        .size:           8
        .value_kind:     hidden_global_offset_y
      - .offset:         112
        .size:           8
        .value_kind:     hidden_global_offset_z
      - .offset:         120
        .size:           2
        .value_kind:     hidden_grid_dims
    .group_segment_fixed_size: 0
    .kernarg_segment_align: 8
    .kernarg_segment_size: 312
    .language:       OpenCL C
    .language_version:
      - 2
      - 0
    .max_flat_workgroup_size: 1024
    .name:           _ZN9rocsolver6v33100L14copyshift_downI19rocblas_complex_numIfEPS3_EEvbiT0_iilPT_iil
    .private_segment_fixed_size: 0
    .sgpr_count:     22
    .sgpr_spill_count: 0
    .symbol:         _ZN9rocsolver6v33100L14copyshift_downI19rocblas_complex_numIfEPS3_EEvbiT0_iilPT_iil.kd
    .uniform_work_group_size: 1
    .uses_dynamic_stack: false
    .vgpr_count:     10
    .vgpr_spill_count: 0
    .wavefront_size: 64
  - .agpr_count:     0
    .args:
      - .address_space:  global
        .offset:         0
        .size:           8
        .value_kind:     global_buffer
      - .offset:         8
        .size:           4
        .value_kind:     by_value
      - .offset:         16
        .size:           16
        .value_kind:     by_value
    .group_segment_fixed_size: 0
    .kernarg_segment_align: 8
    .kernarg_segment_size: 32
    .language:       OpenCL C
    .language_version:
      - 2
      - 0
    .max_flat_workgroup_size: 32
    .name:           _ZN9rocsolver6v33100L6iota_nI19rocblas_complex_numIdEEEvPT_jS4_
    .private_segment_fixed_size: 0
    .sgpr_count:     12
    .sgpr_spill_count: 0
    .symbol:         _ZN9rocsolver6v33100L6iota_nI19rocblas_complex_numIdEEEvPT_jS4_.kd
    .uniform_work_group_size: 1
    .uses_dynamic_stack: false
    .vgpr_count:     5
    .vgpr_spill_count: 0
    .wavefront_size: 64
  - .agpr_count:     0
    .args:
      - .offset:         0
        .size:           4
        .value_kind:     by_value
      - .offset:         4
        .size:           4
        .value_kind:     by_value
      - .offset:         8
        .size:           4
        .value_kind:     by_value
      - .address_space:  global
        .offset:         16
        .size:           8
        .value_kind:     global_buffer
      - .offset:         24
        .size:           4
        .value_kind:     by_value
      - .offset:         28
        .size:           4
        .value_kind:     by_value
      - .offset:         32
        .size:           8
        .value_kind:     by_value
      - .offset:         40
        .size:           4
        .value_kind:     hidden_block_count_x
      - .offset:         44
        .size:           4
        .value_kind:     hidden_block_count_y
      - .offset:         48
        .size:           4
        .value_kind:     hidden_block_count_z
      - .offset:         52
        .size:           2
        .value_kind:     hidden_group_size_x
      - .offset:         54
        .size:           2
        .value_kind:     hidden_group_size_y
      - .offset:         56
        .size:           2
        .value_kind:     hidden_group_size_z
      - .offset:         58
        .size:           2
        .value_kind:     hidden_remainder_x
      - .offset:         60
        .size:           2
        .value_kind:     hidden_remainder_y
      - .offset:         62
        .size:           2
        .value_kind:     hidden_remainder_z
      - .offset:         80
        .size:           8
        .value_kind:     hidden_global_offset_x
      - .offset:         88
        .size:           8
        .value_kind:     hidden_global_offset_y
      - .offset:         96
        .size:           8
        .value_kind:     hidden_global_offset_z
      - .offset:         104
        .size:           2
        .value_kind:     hidden_grid_dims
    .group_segment_fixed_size: 0
    .kernarg_segment_align: 8
    .kernarg_segment_size: 296
    .language:       OpenCL C
    .language_version:
      - 2
      - 0
    .max_flat_workgroup_size: 1024
    .name:           _ZN9rocsolver6v33100L16org2r_init_identI19rocblas_complex_numIdEPS3_EEviiiT0_iil
    .private_segment_fixed_size: 0
    .sgpr_count:     20
    .sgpr_spill_count: 0
    .symbol:         _ZN9rocsolver6v33100L16org2r_init_identI19rocblas_complex_numIdEPS3_EEviiiT0_iil.kd
    .uniform_work_group_size: 1
    .uses_dynamic_stack: false
    .vgpr_count:     6
    .vgpr_spill_count: 0
    .wavefront_size: 64
  - .agpr_count:     0
    .args:
      - .offset:         0
        .size:           4
        .value_kind:     by_value
      - .offset:         4
        .size:           4
        .value_kind:     by_value
      - .address_space:  global
        .offset:         8
        .size:           8
        .value_kind:     global_buffer
      - .offset:         16
        .size:           8
        .value_kind:     by_value
      - .offset:         24
        .size:           4
        .value_kind:     by_value
      - .offset:         32
        .size:           8
        .value_kind:     by_value
      - .address_space:  global
        .offset:         40
        .size:           8
        .value_kind:     global_buffer
      - .offset:         48
        .size:           8
        .value_kind:     by_value
      - .address_space:  global
        .offset:         56
        .size:           8
        .value_kind:     global_buffer
      - .offset:         64
        .size:           8
        .value_kind:     by_value
      - .offset:         72
        .size:           4
        .value_kind:     by_value
      - .offset:         80
        .size:           8
        .value_kind:     by_value
    .group_segment_fixed_size: 0
    .kernarg_segment_align: 8
    .kernarg_segment_size: 88
    .language:       OpenCL C
    .language_version:
      - 2
      - 0
    .max_flat_workgroup_size: 1024
    .name:           _ZN9rocsolver6v33100L16larf_left_kernelILi1024E19rocblas_complex_numIdEiPS3_EEvT1_S5_T2_lS5_lPKT0_lS6_lS5_l
    .private_segment_fixed_size: 0
    .sgpr_count:     42
    .sgpr_spill_count: 0
    .symbol:         _ZN9rocsolver6v33100L16larf_left_kernelILi1024E19rocblas_complex_numIdEiPS3_EEvT1_S5_T2_lS5_lPKT0_lS6_lS5_l.kd
    .uniform_work_group_size: 1
    .uses_dynamic_stack: false
    .vgpr_count:     22
    .vgpr_spill_count: 0
    .wavefront_size: 64
  - .agpr_count:     0
    .args:
      - .offset:         0
        .size:           4
        .value_kind:     by_value
      - .offset:         4
        .size:           4
        .value_kind:     by_value
      - .address_space:  global
        .offset:         8
        .size:           8
        .value_kind:     global_buffer
      - .offset:         16
        .size:           8
        .value_kind:     by_value
      - .offset:         24
        .size:           4
        .value_kind:     by_value
      - .offset:         32
        .size:           8
        .value_kind:     by_value
      - .address_space:  global
        .offset:         40
        .size:           8
        .value_kind:     global_buffer
      - .offset:         48
        .size:           8
        .value_kind:     by_value
      - .address_space:  global
        .offset:         56
        .size:           8
        .value_kind:     global_buffer
      - .offset:         64
        .size:           8
        .value_kind:     by_value
      - .offset:         72
        .size:           4
        .value_kind:     by_value
      - .offset:         80
        .size:           8
        .value_kind:     by_value
    .group_segment_fixed_size: 0
    .kernarg_segment_align: 8
    .kernarg_segment_size: 88
    .language:       OpenCL C
    .language_version:
      - 2
      - 0
    .max_flat_workgroup_size: 1024
    .name:           _ZN9rocsolver6v33100L17larf_right_kernelILi1024E19rocblas_complex_numIdEiPS3_EEvT1_S5_T2_lS5_lPKT0_lS6_lS5_l
    .private_segment_fixed_size: 0
    .sgpr_count:     44
    .sgpr_spill_count: 0
    .symbol:         _ZN9rocsolver6v33100L17larf_right_kernelILi1024E19rocblas_complex_numIdEiPS3_EEvT1_S5_T2_lS5_lPKT0_lS6_lS5_l.kd
    .uniform_work_group_size: 1
    .uses_dynamic_stack: false
    .vgpr_count:     23
    .vgpr_spill_count: 0
    .wavefront_size: 64
  - .agpr_count:     0
    .args:
      - .offset:         0
        .size:           4
        .value_kind:     by_value
      - .offset:         4
        .size:           4
        .value_kind:     by_value
      - .address_space:  global
        .offset:         8
        .size:           8
        .value_kind:     global_buffer
      - .offset:         16
        .size:           4
        .value_kind:     by_value
      - .offset:         20
        .size:           4
        .value_kind:     by_value
      - .offset:         24
        .size:           8
        .value_kind:     by_value
      - .address_space:  global
        .offset:         32
        .size:           8
        .value_kind:     global_buffer
      - .offset:         40
        .size:           8
        .value_kind:     by_value
    .group_segment_fixed_size: 0
    .kernarg_segment_align: 8
    .kernarg_segment_size: 48
    .language:       OpenCL C
    .language_version:
      - 2
      - 0
    .max_flat_workgroup_size: 1024
    .name:           _ZN9rocsolver6v33100L12subtract_tauI19rocblas_complex_numIdEPS3_EEviiT0_iilPT_l
    .private_segment_fixed_size: 0
    .sgpr_count:     20
    .sgpr_spill_count: 0
    .symbol:         _ZN9rocsolver6v33100L12subtract_tauI19rocblas_complex_numIdEPS3_EEviiT0_iilPT_l.kd
    .uniform_work_group_size: 1
    .uses_dynamic_stack: false
    .vgpr_count:     5
    .vgpr_spill_count: 0
    .wavefront_size: 64
  - .agpr_count:     0
    .args:
      - .offset:         0
        .size:           4
        .value_kind:     by_value
      - .address_space:  global
        .offset:         8
        .size:           8
        .value_kind:     global_buffer
      - .offset:         16
        .size:           8
        .value_kind:     by_value
      - .offset:         24
        .size:           4
        .value_kind:     hidden_block_count_x
      - .offset:         28
        .size:           4
        .value_kind:     hidden_block_count_y
      - .offset:         32
        .size:           4
        .value_kind:     hidden_block_count_z
      - .offset:         36
        .size:           2
        .value_kind:     hidden_group_size_x
      - .offset:         38
        .size:           2
        .value_kind:     hidden_group_size_y
      - .offset:         40
        .size:           2
        .value_kind:     hidden_group_size_z
      - .offset:         42
        .size:           2
        .value_kind:     hidden_remainder_x
      - .offset:         44
        .size:           2
        .value_kind:     hidden_remainder_y
      - .offset:         46
        .size:           2
        .value_kind:     hidden_remainder_z
      - .offset:         64
        .size:           8
        .value_kind:     hidden_global_offset_x
      - .offset:         72
        .size:           8
        .value_kind:     hidden_global_offset_y
      - .offset:         80
        .size:           8
        .value_kind:     hidden_global_offset_z
      - .offset:         88
        .size:           2
        .value_kind:     hidden_grid_dims
    .group_segment_fixed_size: 0
    .kernarg_segment_align: 8
    .kernarg_segment_size: 280
    .language:       OpenCL C
    .language_version:
      - 2
      - 0
    .max_flat_workgroup_size: 1024
    .name:           _ZN9rocsolver6v33100L6restauI19rocblas_complex_numIdEEEviPT_l
    .private_segment_fixed_size: 0
    .sgpr_count:     12
    .sgpr_spill_count: 0
    .symbol:         _ZN9rocsolver6v33100L6restauI19rocblas_complex_numIdEEEviPT_l.kd
    .uniform_work_group_size: 1
    .uses_dynamic_stack: false
    .vgpr_count:     6
    .vgpr_spill_count: 0
    .wavefront_size: 64
  - .agpr_count:     0
    .args:
      - .offset:         0
        .size:           4
        .value_kind:     by_value
      - .offset:         4
        .size:           4
        .value_kind:     by_value
      - .address_space:  global
        .offset:         8
        .size:           8
        .value_kind:     global_buffer
      - .offset:         16
        .size:           4
        .value_kind:     by_value
      - .offset:         20
        .size:           4
        .value_kind:     by_value
      - .offset:         24
        .size:           8
        .value_kind:     by_value
      - .offset:         32
        .size:           4
        .value_kind:     by_value
      - .offset:         40
        .size:           4
        .value_kind:     hidden_block_count_x
      - .offset:         44
        .size:           4
        .value_kind:     hidden_block_count_y
      - .offset:         48
        .size:           4
        .value_kind:     hidden_block_count_z
      - .offset:         52
        .size:           2
        .value_kind:     hidden_group_size_x
      - .offset:         54
        .size:           2
        .value_kind:     hidden_group_size_y
      - .offset:         56
        .size:           2
        .value_kind:     hidden_group_size_z
      - .offset:         58
        .size:           2
        .value_kind:     hidden_remainder_x
      - .offset:         60
        .size:           2
        .value_kind:     hidden_remainder_y
      - .offset:         62
        .size:           2
        .value_kind:     hidden_remainder_z
      - .offset:         80
        .size:           8
        .value_kind:     hidden_global_offset_x
      - .offset:         88
        .size:           8
        .value_kind:     hidden_global_offset_y
      - .offset:         96
        .size:           8
        .value_kind:     hidden_global_offset_z
      - .offset:         104
        .size:           2
        .value_kind:     hidden_grid_dims
    .group_segment_fixed_size: 0
    .kernarg_segment_align: 8
    .kernarg_segment_size: 296
    .language:       OpenCL C
    .language_version:
      - 2
      - 0
    .max_flat_workgroup_size: 1024
    .name:           _ZN9rocsolver6v33100L8set_zeroI19rocblas_complex_numIdEPS3_EEviiT0_iil13rocblas_fill_
    .private_segment_fixed_size: 0
    .sgpr_count:     13
    .sgpr_spill_count: 0
    .symbol:         _ZN9rocsolver6v33100L8set_zeroI19rocblas_complex_numIdEPS3_EEviiT0_iil13rocblas_fill_.kd
    .uniform_work_group_size: 1
    .uses_dynamic_stack: false
    .vgpr_count:     6
    .vgpr_spill_count: 0
    .wavefront_size: 64
  - .agpr_count:     0
    .args:
      - .offset:         0
        .size:           4
        .value_kind:     by_value
      - .offset:         4
        .size:           4
        .value_kind:     by_value
      - .address_space:  global
        .offset:         8
        .size:           8
        .value_kind:     global_buffer
      - .offset:         16
        .size:           4
        .value_kind:     by_value
      - .offset:         20
        .size:           4
        .value_kind:     by_value
      - .offset:         24
        .size:           8
        .value_kind:     by_value
      - .address_space:  global
        .offset:         32
        .size:           8
        .value_kind:     global_buffer
      - .offset:         40
        .size:           8
        .value_kind:     by_value
      - .address_space:  global
        .offset:         48
        .size:           8
        .value_kind:     global_buffer
      - .offset:         56
        .size:           4
        .value_kind:     by_value
      - .offset:         64
        .size:           8
        .value_kind:     by_value
      - .offset:         72
        .size:           4
        .value_kind:     by_value
      - .offset:         76
        .size:           4
        .value_kind:     by_value
      - .offset:         80
        .size:           1
        .value_kind:     by_value
      - .offset:         88
        .size:           4
        .value_kind:     hidden_block_count_x
      - .offset:         92
        .size:           4
        .value_kind:     hidden_block_count_y
      - .offset:         96
        .size:           4
        .value_kind:     hidden_block_count_z
      - .offset:         100
        .size:           2
        .value_kind:     hidden_group_size_x
      - .offset:         102
        .size:           2
        .value_kind:     hidden_group_size_y
      - .offset:         104
        .size:           2
        .value_kind:     hidden_group_size_z
      - .offset:         106
        .size:           2
        .value_kind:     hidden_remainder_x
      - .offset:         108
        .size:           2
        .value_kind:     hidden_remainder_y
      - .offset:         110
        .size:           2
        .value_kind:     hidden_remainder_z
      - .offset:         128
        .size:           8
        .value_kind:     hidden_global_offset_x
      - .offset:         136
        .size:           8
        .value_kind:     hidden_global_offset_y
      - .offset:         144
        .size:           8
        .value_kind:     hidden_global_offset_z
      - .offset:         152
        .size:           2
        .value_kind:     hidden_grid_dims
    .group_segment_fixed_size: 0
    .kernarg_segment_align: 8
    .kernarg_segment_size: 344
    .language:       OpenCL C
    .language_version:
      - 2
      - 0
    .max_flat_workgroup_size: 1024
    .name:           _ZN9rocsolver6v33100L14set_triangularI19rocblas_complex_numIdEPS3_TnNSt9enable_ifIX18rocblas_is_complexIT_EEiE4typeELi0EEEviiT0_iilPS6_lSA_il15rocblas_direct_15rocblas_storev_b
    .private_segment_fixed_size: 0
    .sgpr_count:     27
    .sgpr_spill_count: 0
    .symbol:         _ZN9rocsolver6v33100L14set_triangularI19rocblas_complex_numIdEPS3_TnNSt9enable_ifIX18rocblas_is_complexIT_EEiE4typeELi0EEEviiT0_iilPS6_lSA_il15rocblas_direct_15rocblas_storev_b.kd
    .uniform_work_group_size: 1
    .uses_dynamic_stack: false
    .vgpr_count:     22
    .vgpr_spill_count: 0
    .wavefront_size: 64
  - .agpr_count:     0
    .args:
      - .offset:         0
        .size:           4
        .value_kind:     by_value
      - .address_space:  global
        .offset:         8
        .size:           8
        .value_kind:     global_buffer
      - .offset:         16
        .size:           8
        .value_kind:     by_value
      - .offset:         24
        .size:           4
        .value_kind:     hidden_block_count_x
      - .offset:         28
        .size:           4
        .value_kind:     hidden_block_count_y
      - .offset:         32
        .size:           4
        .value_kind:     hidden_block_count_z
      - .offset:         36
        .size:           2
        .value_kind:     hidden_group_size_x
      - .offset:         38
        .size:           2
        .value_kind:     hidden_group_size_y
      - .offset:         40
        .size:           2
        .value_kind:     hidden_group_size_z
      - .offset:         42
        .size:           2
        .value_kind:     hidden_remainder_x
      - .offset:         44
        .size:           2
        .value_kind:     hidden_remainder_y
      - .offset:         46
        .size:           2
        .value_kind:     hidden_remainder_z
      - .offset:         64
        .size:           8
        .value_kind:     hidden_global_offset_x
      - .offset:         72
        .size:           8
        .value_kind:     hidden_global_offset_y
      - .offset:         80
        .size:           8
        .value_kind:     hidden_global_offset_z
      - .offset:         88
        .size:           2
        .value_kind:     hidden_grid_dims
    .group_segment_fixed_size: 0
    .kernarg_segment_align: 8
    .kernarg_segment_size: 280
    .language:       OpenCL C
    .language_version:
      - 2
      - 0
    .max_flat_workgroup_size: 1024
    .name:           _ZN9rocsolver6v33100L7set_tauI19rocblas_complex_numIdEEEviPT_l
    .private_segment_fixed_size: 0
    .sgpr_count:     12
    .sgpr_spill_count: 0
    .symbol:         _ZN9rocsolver6v33100L7set_tauI19rocblas_complex_numIdEEEviPT_l.kd
    .uniform_work_group_size: 1
    .uses_dynamic_stack: false
    .vgpr_count:     6
    .vgpr_spill_count: 0
    .wavefront_size: 64
  - .agpr_count:     0
    .args:
      - .offset:         0
        .size:           4
        .value_kind:     by_value
      - .offset:         4
        .size:           4
        .value_kind:     by_value
      - .offset:         8
        .size:           4
        .value_kind:     by_value
      - .address_space:  global
        .offset:         16
        .size:           8
        .value_kind:     global_buffer
      - .offset:         24
        .size:           4
        .value_kind:     by_value
      - .offset:         28
        .size:           4
        .value_kind:     by_value
      - .offset:         32
        .size:           8
        .value_kind:     by_value
      - .address_space:  global
        .offset:         40
        .size:           8
        .value_kind:     global_buffer
      - .offset:         48
        .size:           8
        .value_kind:     by_value
      - .address_space:  global
        .offset:         56
        .size:           8
        .value_kind:     global_buffer
      - .offset:         64
        .size:           4
        .value_kind:     by_value
      - .offset:         72
        .size:           8
        .value_kind:     by_value
      - .offset:         80
        .size:           4
        .value_kind:     hidden_block_count_x
      - .offset:         84
        .size:           4
        .value_kind:     hidden_block_count_y
      - .offset:         88
        .size:           4
        .value_kind:     hidden_block_count_z
      - .offset:         92
        .size:           2
        .value_kind:     hidden_group_size_x
      - .offset:         94
        .size:           2
        .value_kind:     hidden_group_size_y
      - .offset:         96
        .size:           2
        .value_kind:     hidden_group_size_z
      - .offset:         98
        .size:           2
        .value_kind:     hidden_remainder_x
      - .offset:         100
        .size:           2
        .value_kind:     hidden_remainder_y
      - .offset:         102
        .size:           2
        .value_kind:     hidden_remainder_z
      - .offset:         120
        .size:           8
        .value_kind:     hidden_global_offset_x
      - .offset:         128
        .size:           8
        .value_kind:     hidden_global_offset_y
      - .offset:         136
        .size:           8
        .value_kind:     hidden_global_offset_z
      - .offset:         144
        .size:           2
        .value_kind:     hidden_grid_dims
      - .offset:         200
        .size:           4
        .value_kind:     hidden_dynamic_lds_size
    .group_segment_fixed_size: 0
    .kernarg_segment_align: 8
    .kernarg_segment_size: 336
    .language:       OpenCL C
    .language_version:
      - 2
      - 0
    .max_flat_workgroup_size: 1024
    .name:           _ZN9rocsolver6v33100L20larft_kernel_forwardI19rocblas_complex_numIdEPS3_EEv15rocblas_storev_iiT0_iilPT_lS8_il
    .private_segment_fixed_size: 0
    .sgpr_count:     60
    .sgpr_spill_count: 0
    .symbol:         _ZN9rocsolver6v33100L20larft_kernel_forwardI19rocblas_complex_numIdEPS3_EEv15rocblas_storev_iiT0_iilPT_lS8_il.kd
    .uniform_work_group_size: 1
    .uses_dynamic_stack: false
    .vgpr_count:     28
    .vgpr_spill_count: 0
    .wavefront_size: 64
  - .agpr_count:     0
    .args:
      - .offset:         0
        .size:           4
        .value_kind:     by_value
      - .offset:         4
        .size:           4
        .value_kind:     by_value
      - .address_space:  global
        .offset:         8
        .size:           8
        .value_kind:     global_buffer
      - .offset:         16
        .size:           8
        .value_kind:     by_value
      - .offset:         24
        .size:           4
        .value_kind:     by_value
      - .offset:         32
        .size:           8
        .value_kind:     by_value
      - .offset:         40
        .size:           4
        .value_kind:     hidden_block_count_x
      - .offset:         44
        .size:           4
        .value_kind:     hidden_block_count_y
      - .offset:         48
        .size:           4
        .value_kind:     hidden_block_count_z
      - .offset:         52
        .size:           2
        .value_kind:     hidden_group_size_x
      - .offset:         54
        .size:           2
        .value_kind:     hidden_group_size_y
      - .offset:         56
        .size:           2
        .value_kind:     hidden_group_size_z
      - .offset:         58
        .size:           2
        .value_kind:     hidden_remainder_x
      - .offset:         60
        .size:           2
        .value_kind:     hidden_remainder_y
      - .offset:         62
        .size:           2
        .value_kind:     hidden_remainder_z
      - .offset:         80
        .size:           8
        .value_kind:     hidden_global_offset_x
      - .offset:         88
        .size:           8
        .value_kind:     hidden_global_offset_y
      - .offset:         96
        .size:           8
        .value_kind:     hidden_global_offset_z
      - .offset:         104
        .size:           2
        .value_kind:     hidden_grid_dims
    .group_segment_fixed_size: 0
    .kernarg_segment_align: 8
    .kernarg_segment_size: 296
    .language:       OpenCL C
    .language_version:
      - 2
      - 0
    .max_flat_workgroup_size: 1024
    .name:           _ZN9rocsolver6v33100L13conj_in_placeI19rocblas_complex_numIdEiPS3_TnNSt9enable_ifIX18rocblas_is_complexIT_EEiE4typeELi0EEEvT0_S9_T1_lS9_l
    .private_segment_fixed_size: 0
    .sgpr_count:     14
    .sgpr_spill_count: 0
    .symbol:         _ZN9rocsolver6v33100L13conj_in_placeI19rocblas_complex_numIdEiPS3_TnNSt9enable_ifIX18rocblas_is_complexIT_EEiE4typeELi0EEEvT0_S9_T1_lS9_l.kd
    .uniform_work_group_size: 1
    .uses_dynamic_stack: false
    .vgpr_count:     8
    .vgpr_spill_count: 0
    .wavefront_size: 64
  - .agpr_count:     0
    .args:
      - .offset:         0
        .size:           4
        .value_kind:     by_value
      - .offset:         4
        .size:           4
        .value_kind:     by_value
      - .offset:         8
        .size:           4
        .value_kind:     by_value
      - .address_space:  global
        .offset:         16
        .size:           8
        .value_kind:     global_buffer
      - .offset:         24
        .size:           4
        .value_kind:     by_value
      - .offset:         28
        .size:           4
        .value_kind:     by_value
      - .offset:         32
        .size:           8
        .value_kind:     by_value
      - .address_space:  global
        .offset:         40
        .size:           8
        .value_kind:     global_buffer
      - .offset:         48
        .size:           8
        .value_kind:     by_value
      - .address_space:  global
        .offset:         56
        .size:           8
        .value_kind:     global_buffer
      - .offset:         64
        .size:           4
        .value_kind:     by_value
      - .offset:         72
        .size:           8
        .value_kind:     by_value
      - .offset:         80
        .size:           4
        .value_kind:     hidden_block_count_x
      - .offset:         84
        .size:           4
        .value_kind:     hidden_block_count_y
      - .offset:         88
        .size:           4
        .value_kind:     hidden_block_count_z
      - .offset:         92
        .size:           2
        .value_kind:     hidden_group_size_x
      - .offset:         94
        .size:           2
        .value_kind:     hidden_group_size_y
      - .offset:         96
        .size:           2
        .value_kind:     hidden_group_size_z
      - .offset:         98
        .size:           2
        .value_kind:     hidden_remainder_x
      - .offset:         100
        .size:           2
        .value_kind:     hidden_remainder_y
      - .offset:         102
        .size:           2
        .value_kind:     hidden_remainder_z
      - .offset:         120
        .size:           8
        .value_kind:     hidden_global_offset_x
      - .offset:         128
        .size:           8
        .value_kind:     hidden_global_offset_y
      - .offset:         136
        .size:           8
        .value_kind:     hidden_global_offset_z
      - .offset:         144
        .size:           2
        .value_kind:     hidden_grid_dims
      - .offset:         200
        .size:           4
        .value_kind:     hidden_dynamic_lds_size
    .group_segment_fixed_size: 0
    .kernarg_segment_align: 8
    .kernarg_segment_size: 336
    .language:       OpenCL C
    .language_version:
      - 2
      - 0
    .max_flat_workgroup_size: 1024
    .name:           _ZN9rocsolver6v33100L21larft_kernel_backwardI19rocblas_complex_numIdEPS3_EEv15rocblas_storev_iiT0_iilPT_lS8_il
    .private_segment_fixed_size: 0
    .sgpr_count:     60
    .sgpr_spill_count: 0
    .symbol:         _ZN9rocsolver6v33100L21larft_kernel_backwardI19rocblas_complex_numIdEPS3_EEv15rocblas_storev_iiT0_iilPT_lS8_il.kd
    .uniform_work_group_size: 1
    .uses_dynamic_stack: false
    .vgpr_count:     24
    .vgpr_spill_count: 0
    .wavefront_size: 64
  - .agpr_count:     0
    .args:
      - .offset:         0
        .size:           4
        .value_kind:     by_value
      - .offset:         4
        .size:           4
        .value_kind:     by_value
      - .address_space:  global
        .offset:         8
        .size:           8
        .value_kind:     global_buffer
      - .offset:         16
        .size:           4
        .value_kind:     by_value
      - .offset:         20
        .size:           4
        .value_kind:     by_value
      - .offset:         24
        .size:           8
        .value_kind:     by_value
      - .address_space:  global
        .offset:         32
        .size:           8
        .value_kind:     global_buffer
      - .offset:         40
        .size:           4
        .value_kind:     hidden_block_count_x
      - .offset:         44
        .size:           4
        .value_kind:     hidden_block_count_y
      - .offset:         48
        .size:           4
        .value_kind:     hidden_block_count_z
      - .offset:         52
        .size:           2
        .value_kind:     hidden_group_size_x
      - .offset:         54
        .size:           2
        .value_kind:     hidden_group_size_y
      - .offset:         56
        .size:           2
        .value_kind:     hidden_group_size_z
      - .offset:         58
        .size:           2
        .value_kind:     hidden_remainder_x
      - .offset:         60
        .size:           2
        .value_kind:     hidden_remainder_y
      - .offset:         62
        .size:           2
        .value_kind:     hidden_remainder_z
      - .offset:         80
        .size:           8
        .value_kind:     hidden_global_offset_x
      - .offset:         88
        .size:           8
        .value_kind:     hidden_global_offset_y
      - .offset:         96
        .size:           8
        .value_kind:     hidden_global_offset_z
      - .offset:         104
        .size:           2
        .value_kind:     hidden_grid_dims
    .group_segment_fixed_size: 0
    .kernarg_segment_align: 8
    .kernarg_segment_size: 296
    .language:       OpenCL C
    .language_version:
      - 2
      - 0
    .max_flat_workgroup_size: 1024
    .name:           _ZN9rocsolver6v33100L9copymatA1I19rocblas_complex_numIdEPS3_EEviiT0_iilPT_
    .private_segment_fixed_size: 0
    .sgpr_count:     24
    .sgpr_spill_count: 0
    .symbol:         _ZN9rocsolver6v33100L9copymatA1I19rocblas_complex_numIdEPS3_EEviiT0_iilPT_.kd
    .uniform_work_group_size: 1
    .uses_dynamic_stack: false
    .vgpr_count:     8
    .vgpr_spill_count: 0
    .wavefront_size: 64
  - .agpr_count:     0
    .args:
      - .offset:         0
        .size:           4
        .value_kind:     by_value
      - .offset:         4
        .size:           4
        .value_kind:     by_value
      - .address_space:  global
        .offset:         8
        .size:           8
        .value_kind:     global_buffer
      - .offset:         16
        .size:           4
        .value_kind:     by_value
      - .offset:         20
        .size:           4
        .value_kind:     by_value
      - .offset:         24
        .size:           8
        .value_kind:     by_value
      - .address_space:  global
        .offset:         32
        .size:           8
        .value_kind:     global_buffer
      - .offset:         40
        .size:           4
        .value_kind:     hidden_block_count_x
      - .offset:         44
        .size:           4
        .value_kind:     hidden_block_count_y
      - .offset:         48
        .size:           4
        .value_kind:     hidden_block_count_z
      - .offset:         52
        .size:           2
        .value_kind:     hidden_group_size_x
      - .offset:         54
        .size:           2
        .value_kind:     hidden_group_size_y
      - .offset:         56
        .size:           2
        .value_kind:     hidden_group_size_z
      - .offset:         58
        .size:           2
        .value_kind:     hidden_remainder_x
      - .offset:         60
        .size:           2
        .value_kind:     hidden_remainder_y
      - .offset:         62
        .size:           2
        .value_kind:     hidden_remainder_z
      - .offset:         80
        .size:           8
        .value_kind:     hidden_global_offset_x
      - .offset:         88
        .size:           8
        .value_kind:     hidden_global_offset_y
      - .offset:         96
        .size:           8
        .value_kind:     hidden_global_offset_z
      - .offset:         104
        .size:           2
        .value_kind:     hidden_grid_dims
    .group_segment_fixed_size: 0
    .kernarg_segment_align: 8
    .kernarg_segment_size: 296
    .language:       OpenCL C
    .language_version:
      - 2
      - 0
    .max_flat_workgroup_size: 1024
    .name:           _ZN9rocsolver6v33100L8addmatA1I19rocblas_complex_numIdEPS3_EEviiT0_iilPT_
    .private_segment_fixed_size: 0
    .sgpr_count:     19
    .sgpr_spill_count: 0
    .symbol:         _ZN9rocsolver6v33100L8addmatA1I19rocblas_complex_numIdEPS3_EEviiT0_iilPT_.kd
    .uniform_work_group_size: 1
    .uses_dynamic_stack: false
    .vgpr_count:     12
    .vgpr_spill_count: 0
    .wavefront_size: 64
  - .agpr_count:     0
    .args:
      - .offset:         0
        .size:           1
        .value_kind:     by_value
      - .offset:         4
        .size:           4
        .value_kind:     by_value
      - .address_space:  global
        .offset:         8
        .size:           8
        .value_kind:     global_buffer
      - .offset:         16
        .size:           4
        .value_kind:     by_value
      - .offset:         20
        .size:           4
        .value_kind:     by_value
      - .offset:         24
        .size:           8
        .value_kind:     by_value
      - .address_space:  global
        .offset:         32
        .size:           8
        .value_kind:     global_buffer
      - .offset:         40
        .size:           4
        .value_kind:     by_value
      - .offset:         44
        .size:           4
        .value_kind:     by_value
      - .offset:         48
        .size:           8
        .value_kind:     by_value
      - .offset:         56
        .size:           4
        .value_kind:     hidden_block_count_x
      - .offset:         60
        .size:           4
        .value_kind:     hidden_block_count_y
      - .offset:         64
        .size:           4
        .value_kind:     hidden_block_count_z
      - .offset:         68
        .size:           2
        .value_kind:     hidden_group_size_x
      - .offset:         70
        .size:           2
        .value_kind:     hidden_group_size_y
      - .offset:         72
        .size:           2
        .value_kind:     hidden_group_size_z
      - .offset:         74
        .size:           2
        .value_kind:     hidden_remainder_x
      - .offset:         76
        .size:           2
        .value_kind:     hidden_remainder_y
      - .offset:         78
        .size:           2
        .value_kind:     hidden_remainder_z
      - .offset:         96
        .size:           8
        .value_kind:     hidden_global_offset_x
      - .offset:         104
        .size:           8
        .value_kind:     hidden_global_offset_y
      - .offset:         112
        .size:           8
        .value_kind:     hidden_global_offset_z
      - .offset:         120
        .size:           2
        .value_kind:     hidden_grid_dims
    .group_segment_fixed_size: 0
    .kernarg_segment_align: 8
    .kernarg_segment_size: 312
    .language:       OpenCL C
    .language_version:
      - 2
      - 0
    .max_flat_workgroup_size: 1024
    .name:           _ZN9rocsolver6v33100L15copyshift_rightI19rocblas_complex_numIdEPS3_EEvbiT0_iilPT_iil
    .private_segment_fixed_size: 0
    .sgpr_count:     22
    .sgpr_spill_count: 0
    .symbol:         _ZN9rocsolver6v33100L15copyshift_rightI19rocblas_complex_numIdEPS3_EEvbiT0_iilPT_iil.kd
    .uniform_work_group_size: 1
    .uses_dynamic_stack: false
    .vgpr_count:     14
    .vgpr_spill_count: 0
    .wavefront_size: 64
  - .agpr_count:     0
    .args:
      - .offset:         0
        .size:           4
        .value_kind:     by_value
      - .offset:         4
        .size:           4
        .value_kind:     by_value
      - .offset:         8
        .size:           4
        .value_kind:     by_value
      - .address_space:  global
        .offset:         16
        .size:           8
        .value_kind:     global_buffer
      - .offset:         24
        .size:           4
        .value_kind:     by_value
      - .offset:         28
        .size:           4
        .value_kind:     by_value
      - .offset:         32
        .size:           8
        .value_kind:     by_value
      - .offset:         40
        .size:           4
        .value_kind:     hidden_block_count_x
      - .offset:         44
        .size:           4
        .value_kind:     hidden_block_count_y
      - .offset:         48
        .size:           4
        .value_kind:     hidden_block_count_z
      - .offset:         52
        .size:           2
        .value_kind:     hidden_group_size_x
      - .offset:         54
        .size:           2
        .value_kind:     hidden_group_size_y
      - .offset:         56
        .size:           2
        .value_kind:     hidden_group_size_z
      - .offset:         58
        .size:           2
        .value_kind:     hidden_remainder_x
      - .offset:         60
        .size:           2
        .value_kind:     hidden_remainder_y
      - .offset:         62
        .size:           2
        .value_kind:     hidden_remainder_z
      - .offset:         80
        .size:           8
        .value_kind:     hidden_global_offset_x
      - .offset:         88
        .size:           8
        .value_kind:     hidden_global_offset_y
      - .offset:         96
        .size:           8
        .value_kind:     hidden_global_offset_z
      - .offset:         104
        .size:           2
        .value_kind:     hidden_grid_dims
    .group_segment_fixed_size: 0
    .kernarg_segment_align: 8
    .kernarg_segment_size: 296
    .language:       OpenCL C
    .language_version:
      - 2
      - 0
    .max_flat_workgroup_size: 1024
    .name:           _ZN9rocsolver6v33100L16orgl2_init_identI19rocblas_complex_numIdEPS3_EEviiiT0_iil
    .private_segment_fixed_size: 0
    .sgpr_count:     20
    .sgpr_spill_count: 0
    .symbol:         _ZN9rocsolver6v33100L16orgl2_init_identI19rocblas_complex_numIdEPS3_EEviiiT0_iil.kd
    .uniform_work_group_size: 1
    .uses_dynamic_stack: false
    .vgpr_count:     6
    .vgpr_spill_count: 0
    .wavefront_size: 64
  - .agpr_count:     0
    .args:
      - .offset:         0
        .size:           1
        .value_kind:     by_value
      - .offset:         4
        .size:           4
        .value_kind:     by_value
      - .address_space:  global
        .offset:         8
        .size:           8
        .value_kind:     global_buffer
      - .offset:         16
        .size:           4
        .value_kind:     by_value
      - .offset:         20
        .size:           4
        .value_kind:     by_value
      - .offset:         24
        .size:           8
        .value_kind:     by_value
      - .address_space:  global
        .offset:         32
        .size:           8
        .value_kind:     global_buffer
      - .offset:         40
        .size:           4
        .value_kind:     by_value
      - .offset:         44
        .size:           4
        .value_kind:     by_value
      - .offset:         48
        .size:           8
        .value_kind:     by_value
      - .offset:         56
        .size:           4
        .value_kind:     hidden_block_count_x
      - .offset:         60
        .size:           4
        .value_kind:     hidden_block_count_y
      - .offset:         64
        .size:           4
        .value_kind:     hidden_block_count_z
      - .offset:         68
        .size:           2
        .value_kind:     hidden_group_size_x
      - .offset:         70
        .size:           2
        .value_kind:     hidden_group_size_y
      - .offset:         72
        .size:           2
        .value_kind:     hidden_group_size_z
      - .offset:         74
        .size:           2
        .value_kind:     hidden_remainder_x
      - .offset:         76
        .size:           2
        .value_kind:     hidden_remainder_y
      - .offset:         78
        .size:           2
        .value_kind:     hidden_remainder_z
      - .offset:         96
        .size:           8
        .value_kind:     hidden_global_offset_x
      - .offset:         104
        .size:           8
        .value_kind:     hidden_global_offset_y
      - .offset:         112
        .size:           8
        .value_kind:     hidden_global_offset_z
      - .offset:         120
        .size:           2
        .value_kind:     hidden_grid_dims
    .group_segment_fixed_size: 0
    .kernarg_segment_align: 8
    .kernarg_segment_size: 312
    .language:       OpenCL C
    .language_version:
      - 2
      - 0
    .max_flat_workgroup_size: 1024
    .name:           _ZN9rocsolver6v33100L14copyshift_downI19rocblas_complex_numIdEPS3_EEvbiT0_iilPT_iil
    .private_segment_fixed_size: 0
    .sgpr_count:     22
    .sgpr_spill_count: 0
    .symbol:         _ZN9rocsolver6v33100L14copyshift_downI19rocblas_complex_numIdEPS3_EEvbiT0_iilPT_iil.kd
    .uniform_work_group_size: 1
    .uses_dynamic_stack: false
    .vgpr_count:     14
    .vgpr_spill_count: 0
    .wavefront_size: 64
amdhsa.target:   amdgcn-amd-amdhsa--gfx90a
amdhsa.version:
  - 1
  - 2
...

	.end_amdgpu_metadata
